;; amdgpu-corpus repo=ROCm/rocFFT kind=compiled arch=gfx1201 opt=O3
	.text
	.amdgcn_target "amdgcn-amd-amdhsa--gfx1201"
	.amdhsa_code_object_version 6
	.protected	fft_rtc_fwd_len289_factors_17_17_wgs_119_tpt_17_half_ip_CI_sbcc_twdbase8_2step ; -- Begin function fft_rtc_fwd_len289_factors_17_17_wgs_119_tpt_17_half_ip_CI_sbcc_twdbase8_2step
	.globl	fft_rtc_fwd_len289_factors_17_17_wgs_119_tpt_17_half_ip_CI_sbcc_twdbase8_2step
	.p2align	8
	.type	fft_rtc_fwd_len289_factors_17_17_wgs_119_tpt_17_half_ip_CI_sbcc_twdbase8_2step,@function
fft_rtc_fwd_len289_factors_17_17_wgs_119_tpt_17_half_ip_CI_sbcc_twdbase8_2step: ; @fft_rtc_fwd_len289_factors_17_17_wgs_119_tpt_17_half_ip_CI_sbcc_twdbase8_2step
; %bb.0:
	s_load_b128 s[12:15], s[0:1], 0x18
	s_mov_b32 s21, 0
	s_mov_b32 s2, 0x92481000
	s_movk_i32 s3, 0x64
	s_mov_b32 s20, s21
	s_mov_b64 s[26:27], 0
	s_add_nc_u64 s[4:5], s[20:21], s[2:3]
	s_delay_alu instid0(SALU_CYCLE_1) | instskip(NEXT) | instid1(SALU_CYCLE_1)
	s_add_co_i32 s5, s5, 0x249248c0
	s_mul_u64 s[6:7], s[4:5], -7
	s_delay_alu instid0(SALU_CYCLE_1)
	s_mul_hi_u32 s9, s4, s7
	s_mul_i32 s8, s4, s7
	s_mul_hi_u32 s20, s4, s6
	s_mul_i32 s11, s5, s6
	s_add_nc_u64 s[8:9], s[20:21], s[8:9]
	s_mul_hi_u32 s10, s5, s6
	s_mul_hi_u32 s16, s5, s7
	s_mul_i32 s6, s5, s7
	s_wait_kmcnt 0x0
	s_load_b64 s[2:3], s[12:13], 0x8
	s_add_co_u32 s7, s8, s11
	s_add_co_ci_u32 s20, s9, s10
	s_add_co_ci_u32 s7, s16, 0
	s_delay_alu instid0(SALU_CYCLE_1) | instskip(NEXT) | instid1(SALU_CYCLE_1)
	s_add_nc_u64 s[6:7], s[20:21], s[6:7]
	v_add_co_u32 v1, s4, s4, s6
	s_delay_alu instid0(VALU_DEP_1) | instskip(SKIP_1) | instid1(VALU_DEP_1)
	s_cmp_lg_u32 s4, 0
	s_add_co_ci_u32 s8, s5, s7
	v_readfirstlane_b32 s9, v1
	s_wait_kmcnt 0x0
	s_add_nc_u64 s[4:5], s[2:3], -1
	s_wait_alu 0xfffe
	s_mul_hi_u32 s7, s4, s8
	s_mul_i32 s6, s4, s8
	s_mul_hi_u32 s20, s4, s9
	s_mul_hi_u32 s11, s5, s9
	s_mul_i32 s9, s5, s9
	s_wait_alu 0xfffe
	s_add_nc_u64 s[6:7], s[20:21], s[6:7]
	s_mul_hi_u32 s10, s5, s8
	s_wait_alu 0xfffe
	s_add_co_u32 s6, s6, s9
	s_add_co_ci_u32 s20, s7, s11
	s_mul_i32 s8, s5, s8
	s_add_co_ci_u32 s9, s10, 0
	s_delay_alu instid0(SALU_CYCLE_1) | instskip(SKIP_3) | instid1(SALU_CYCLE_1)
	s_add_nc_u64 s[6:7], s[20:21], s[8:9]
	s_mov_b32 s20, ttmp9
	s_wait_alu 0xfffe
	s_mul_u64 s[8:9], s[6:7], 7
	v_sub_co_u32 v1, s4, s4, s8
	s_delay_alu instid0(VALU_DEP_1) | instskip(SKIP_1) | instid1(VALU_DEP_1)
	s_cmp_lg_u32 s4, 0
	s_sub_co_ci_u32 s10, s5, s9
	v_sub_co_u32 v2, s8, v1, 7
	s_delay_alu instid0(VALU_DEP_1) | instskip(SKIP_2) | instid1(VALU_DEP_2)
	s_cmp_lg_u32 s8, 0
	v_readfirstlane_b32 s16, v1
	s_sub_co_ci_u32 s8, s10, 0
	v_readfirstlane_b32 s4, v2
	s_delay_alu instid0(VALU_DEP_1)
	s_cmp_gt_u32 s4, 6
	s_add_nc_u64 s[4:5], s[6:7], 1
	s_cselect_b32 s11, -1, 0
	s_wait_alu 0xfffe
	s_cmp_eq_u32 s8, 0
	s_add_nc_u64 s[8:9], s[6:7], 2
	s_cselect_b32 s11, s11, -1
	s_delay_alu instid0(SALU_CYCLE_1)
	s_cmp_lg_u32 s11, 0
	s_wait_alu 0xfffe
	s_cselect_b32 s4, s8, s4
	s_cselect_b32 s5, s9, s5
	s_cmp_gt_u32 s16, 6
	s_cselect_b32 s8, -1, 0
	s_cmp_eq_u32 s10, 0
	s_wait_alu 0xfffe
	s_cselect_b32 s8, s8, -1
	s_wait_alu 0xfffe
	s_cmp_lg_u32 s8, 0
	s_cselect_b32 s5, s5, s7
	s_cselect_b32 s4, s4, s6
	s_wait_alu 0xfffe
	s_add_nc_u64 s[24:25], s[4:5], 1
	s_delay_alu instid0(SALU_CYCLE_1) | instskip(NEXT) | instid1(VALU_DEP_1)
	v_cmp_lt_u64_e64 s4, s[20:21], s[24:25]
	s_and_b32 vcc_lo, exec_lo, s4
	s_cbranch_vccnz .LBB0_2
; %bb.1:
	v_cvt_f32_u32_e32 v1, s24
	s_sub_co_i32 s5, 0, s24
	s_mov_b32 s27, s21
	s_delay_alu instid0(VALU_DEP_1) | instskip(NEXT) | instid1(TRANS32_DEP_1)
	v_rcp_iflag_f32_e32 v1, v1
	v_mul_f32_e32 v1, 0x4f7ffffe, v1
	s_delay_alu instid0(VALU_DEP_1) | instskip(NEXT) | instid1(VALU_DEP_1)
	v_cvt_u32_f32_e32 v1, v1
	v_readfirstlane_b32 s4, v1
	s_wait_alu 0xfffe
	s_delay_alu instid0(VALU_DEP_1)
	s_mul_i32 s5, s5, s4
	s_wait_alu 0xfffe
	s_mul_hi_u32 s5, s4, s5
	s_wait_alu 0xfffe
	s_add_co_i32 s4, s4, s5
	s_wait_alu 0xfffe
	s_mul_hi_u32 s4, s20, s4
	s_wait_alu 0xfffe
	s_mul_i32 s5, s4, s24
	s_add_co_i32 s6, s4, 1
	s_wait_alu 0xfffe
	s_sub_co_i32 s5, s20, s5
	s_wait_alu 0xfffe
	s_sub_co_i32 s7, s5, s24
	s_cmp_ge_u32 s5, s24
	s_cselect_b32 s4, s6, s4
	s_wait_alu 0xfffe
	s_cselect_b32 s5, s7, s5
	s_add_co_i32 s6, s4, 1
	s_wait_alu 0xfffe
	s_cmp_ge_u32 s5, s24
	s_cselect_b32 s26, s6, s4
.LBB0_2:
	s_load_b128 s[8:11], s[0:1], 0x8
	s_load_b128 s[4:7], s[14:15], 0x0
	s_load_b64 s[16:17], s[0:1], 0x0
	s_mul_u64 s[18:19], s[26:27], s[24:25]
	s_delay_alu instid0(SALU_CYCLE_1) | instskip(NEXT) | instid1(SALU_CYCLE_1)
	s_sub_nc_u64 s[18:19], s[20:21], s[18:19]
	s_mul_u64 s[18:19], s[18:19], 7
	s_wait_kmcnt 0x0
	v_cmp_lt_u64_e64 s22, s[10:11], 3
	s_delay_alu instid0(VALU_DEP_1)
	s_and_b32 vcc_lo, exec_lo, s22
	s_mul_u64 s[22:23], s[6:7], s[18:19]
	s_cbranch_vccnz .LBB0_12
; %bb.3:
	s_add_nc_u64 s[28:29], s[14:15], 16
	s_add_nc_u64 s[12:13], s[12:13], 16
	s_mov_b64 s[30:31], 2
	s_mov_b32 s34, 0
.LBB0_4:                                ; =>This Inner Loop Header: Depth=1
	s_load_b64 s[36:37], s[12:13], 0x0
                                        ; implicit-def: $sgpr40_sgpr41
	s_wait_kmcnt 0x0
	s_or_b64 s[38:39], s[26:27], s[36:37]
	s_delay_alu instid0(SALU_CYCLE_1)
	s_mov_b32 s35, s39
	s_mov_b32 s39, -1
	s_cmp_lg_u64 s[34:35], 0
	s_cbranch_scc0 .LBB0_6
; %bb.5:                                ;   in Loop: Header=BB0_4 Depth=1
	s_cvt_f32_u32 s33, s36
	s_cvt_f32_u32 s35, s37
	s_sub_nc_u64 s[42:43], 0, s[36:37]
	s_mov_b32 s39, 0
	s_mov_b32 s47, s34
	s_wait_alu 0xfffe
	s_fmamk_f32 s33, s35, 0x4f800000, s33
	s_wait_alu 0xfffe
	s_delay_alu instid0(SALU_CYCLE_2) | instskip(NEXT) | instid1(TRANS32_DEP_1)
	v_s_rcp_f32 s33, s33
	s_mul_f32 s33, s33, 0x5f7ffffc
	s_wait_alu 0xfffe
	s_delay_alu instid0(SALU_CYCLE_2) | instskip(NEXT) | instid1(SALU_CYCLE_3)
	s_mul_f32 s35, s33, 0x2f800000
	s_trunc_f32 s35, s35
	s_delay_alu instid0(SALU_CYCLE_3) | instskip(SKIP_2) | instid1(SALU_CYCLE_1)
	s_fmamk_f32 s33, s35, 0xcf800000, s33
	s_cvt_u32_f32 s41, s35
	s_wait_alu 0xfffe
	s_cvt_u32_f32 s40, s33
	s_wait_alu 0xfffe
	s_delay_alu instid0(SALU_CYCLE_2)
	s_mul_u64 s[44:45], s[42:43], s[40:41]
	s_wait_alu 0xfffe
	s_mul_hi_u32 s49, s40, s45
	s_mul_i32 s48, s40, s45
	s_mul_hi_u32 s38, s40, s44
	s_mul_i32 s35, s41, s44
	s_add_nc_u64 s[48:49], s[38:39], s[48:49]
	s_mul_hi_u32 s33, s41, s44
	s_mul_hi_u32 s50, s41, s45
	s_add_co_u32 s35, s48, s35
	s_wait_alu 0xfffe
	s_add_co_ci_u32 s46, s49, s33
	s_mul_i32 s44, s41, s45
	s_add_co_ci_u32 s45, s50, 0
	s_wait_alu 0xfffe
	s_add_nc_u64 s[44:45], s[46:47], s[44:45]
	s_wait_alu 0xfffe
	v_add_co_u32 v1, s33, s40, s44
	s_delay_alu instid0(VALU_DEP_1) | instskip(SKIP_1) | instid1(VALU_DEP_1)
	s_cmp_lg_u32 s33, 0
	s_add_co_ci_u32 s41, s41, s45
	v_readfirstlane_b32 s40, v1
	s_mov_b32 s45, s34
	s_wait_alu 0xfffe
	s_delay_alu instid0(VALU_DEP_1)
	s_mul_u64 s[42:43], s[42:43], s[40:41]
	s_wait_alu 0xfffe
	s_mul_hi_u32 s47, s40, s43
	s_mul_i32 s46, s40, s43
	s_mul_hi_u32 s38, s40, s42
	s_mul_i32 s35, s41, s42
	s_add_nc_u64 s[46:47], s[38:39], s[46:47]
	s_mul_hi_u32 s33, s41, s42
	s_mul_hi_u32 s40, s41, s43
	s_add_co_u32 s35, s46, s35
	s_wait_alu 0xfffe
	s_add_co_ci_u32 s44, s47, s33
	s_mul_i32 s42, s41, s43
	s_add_co_ci_u32 s43, s40, 0
	s_wait_alu 0xfffe
	s_add_nc_u64 s[42:43], s[44:45], s[42:43]
	s_wait_alu 0xfffe
	v_add_co_u32 v1, s33, v1, s42
	s_delay_alu instid0(VALU_DEP_1) | instskip(SKIP_1) | instid1(VALU_DEP_1)
	s_cmp_lg_u32 s33, 0
	s_add_co_ci_u32 s33, s41, s43
	v_readfirstlane_b32 s35, v1
	s_wait_alu 0xfffe
	s_mul_hi_u32 s41, s26, s33
	s_mul_i32 s40, s26, s33
	s_mul_hi_u32 s43, s27, s33
	s_mul_i32 s42, s27, s33
	;; [unrolled: 2-line block ×3, first 2 shown]
	s_wait_alu 0xfffe
	s_add_nc_u64 s[40:41], s[38:39], s[40:41]
	s_mul_hi_u32 s35, s27, s35
	s_wait_alu 0xfffe
	s_add_co_u32 s33, s40, s33
	s_add_co_ci_u32 s44, s41, s35
	s_add_co_ci_u32 s43, s43, 0
	s_wait_alu 0xfffe
	s_add_nc_u64 s[40:41], s[44:45], s[42:43]
	s_wait_alu 0xfffe
	s_mul_u64 s[42:43], s[36:37], s[40:41]
	s_add_nc_u64 s[44:45], s[40:41], 1
	s_wait_alu 0xfffe
	v_sub_co_u32 v1, s33, s26, s42
	s_sub_co_i32 s35, s27, s43
	s_cmp_lg_u32 s33, 0
	s_add_nc_u64 s[46:47], s[40:41], 2
	s_delay_alu instid0(VALU_DEP_1) | instskip(SKIP_2) | instid1(VALU_DEP_1)
	v_sub_co_u32 v2, s38, v1, s36
	s_sub_co_ci_u32 s35, s35, s37
	s_cmp_lg_u32 s38, 0
	v_readfirstlane_b32 s38, v2
	s_sub_co_ci_u32 s35, s35, 0
	s_delay_alu instid0(SALU_CYCLE_1) | instskip(SKIP_1) | instid1(VALU_DEP_1)
	s_cmp_ge_u32 s35, s37
	s_cselect_b32 s42, -1, 0
	s_cmp_ge_u32 s38, s36
	s_cselect_b32 s38, -1, 0
	s_cmp_eq_u32 s35, s37
	s_wait_alu 0xfffe
	s_cselect_b32 s35, s38, s42
	s_delay_alu instid0(SALU_CYCLE_1)
	s_cmp_lg_u32 s35, 0
	s_cselect_b32 s35, s46, s44
	s_cselect_b32 s38, s47, s45
	s_cmp_lg_u32 s33, 0
	v_readfirstlane_b32 s33, v1
	s_sub_co_ci_u32 s42, s27, s43
	s_wait_alu 0xfffe
	s_cmp_ge_u32 s42, s37
	s_cselect_b32 s43, -1, 0
	s_cmp_ge_u32 s33, s36
	s_cselect_b32 s33, -1, 0
	s_cmp_eq_u32 s42, s37
	s_wait_alu 0xfffe
	s_cselect_b32 s33, s33, s43
	s_wait_alu 0xfffe
	s_cmp_lg_u32 s33, 0
	s_cselect_b32 s41, s38, s41
	s_cselect_b32 s40, s35, s40
.LBB0_6:                                ;   in Loop: Header=BB0_4 Depth=1
	s_and_not1_b32 vcc_lo, exec_lo, s39
	s_cbranch_vccnz .LBB0_8
; %bb.7:                                ;   in Loop: Header=BB0_4 Depth=1
	v_cvt_f32_u32_e32 v1, s36
	s_sub_co_i32 s35, 0, s36
	s_mov_b32 s41, s34
	s_delay_alu instid0(VALU_DEP_1) | instskip(NEXT) | instid1(TRANS32_DEP_1)
	v_rcp_iflag_f32_e32 v1, v1
	v_mul_f32_e32 v1, 0x4f7ffffe, v1
	s_delay_alu instid0(VALU_DEP_1) | instskip(NEXT) | instid1(VALU_DEP_1)
	v_cvt_u32_f32_e32 v1, v1
	v_readfirstlane_b32 s33, v1
	s_delay_alu instid0(VALU_DEP_1) | instskip(NEXT) | instid1(SALU_CYCLE_1)
	s_mul_i32 s35, s35, s33
	s_mul_hi_u32 s35, s33, s35
	s_delay_alu instid0(SALU_CYCLE_1)
	s_add_co_i32 s33, s33, s35
	s_wait_alu 0xfffe
	s_mul_hi_u32 s33, s26, s33
	s_wait_alu 0xfffe
	s_mul_i32 s35, s33, s36
	s_add_co_i32 s38, s33, 1
	s_sub_co_i32 s35, s26, s35
	s_delay_alu instid0(SALU_CYCLE_1)
	s_sub_co_i32 s39, s35, s36
	s_cmp_ge_u32 s35, s36
	s_cselect_b32 s33, s38, s33
	s_cselect_b32 s35, s39, s35
	s_wait_alu 0xfffe
	s_add_co_i32 s38, s33, 1
	s_cmp_ge_u32 s35, s36
	s_cselect_b32 s40, s38, s33
.LBB0_8:                                ;   in Loop: Header=BB0_4 Depth=1
	s_load_b64 s[38:39], s[28:29], 0x0
	s_add_nc_u64 s[30:31], s[30:31], 1
	s_mul_u64 s[24:25], s[36:37], s[24:25]
	s_wait_alu 0xfffe
	v_cmp_ge_u64_e64 s33, s[30:31], s[10:11]
	s_mul_u64 s[36:37], s[40:41], s[36:37]
	s_add_nc_u64 s[28:29], s[28:29], 8
	s_wait_alu 0xfffe
	s_sub_nc_u64 s[26:27], s[26:27], s[36:37]
	s_add_nc_u64 s[12:13], s[12:13], 8
	s_and_b32 vcc_lo, exec_lo, s33
	s_wait_kmcnt 0x0
	s_wait_alu 0xfffe
	s_mul_u64 s[26:27], s[38:39], s[26:27]
	s_wait_alu 0xfffe
	s_add_nc_u64 s[22:23], s[26:27], s[22:23]
	s_cbranch_vccnz .LBB0_10
; %bb.9:                                ;   in Loop: Header=BB0_4 Depth=1
	s_mov_b64 s[26:27], s[40:41]
	s_branch .LBB0_4
.LBB0_10:
	v_cmp_lt_u64_e64 s12, s[20:21], s[24:25]
	s_mov_b64 s[26:27], 0
	s_delay_alu instid0(VALU_DEP_1)
	s_and_b32 vcc_lo, exec_lo, s12
	s_cbranch_vccnz .LBB0_12
; %bb.11:
	v_cvt_f32_u32_e32 v1, s24
	s_sub_co_i32 s13, 0, s24
	s_mov_b32 s27, 0
	s_delay_alu instid0(VALU_DEP_1) | instskip(NEXT) | instid1(TRANS32_DEP_1)
	v_rcp_iflag_f32_e32 v1, v1
	v_mul_f32_e32 v1, 0x4f7ffffe, v1
	s_delay_alu instid0(VALU_DEP_1) | instskip(NEXT) | instid1(VALU_DEP_1)
	v_cvt_u32_f32_e32 v1, v1
	v_readfirstlane_b32 s12, v1
	s_delay_alu instid0(VALU_DEP_1) | instskip(NEXT) | instid1(SALU_CYCLE_1)
	s_mul_i32 s13, s13, s12
	s_mul_hi_u32 s13, s12, s13
	s_delay_alu instid0(SALU_CYCLE_1) | instskip(NEXT) | instid1(SALU_CYCLE_1)
	s_add_co_i32 s12, s12, s13
	s_mul_hi_u32 s12, s20, s12
	s_delay_alu instid0(SALU_CYCLE_1) | instskip(NEXT) | instid1(SALU_CYCLE_1)
	s_mul_i32 s13, s12, s24
	s_sub_co_i32 s13, s20, s13
	s_add_co_i32 s20, s12, 1
	s_sub_co_i32 s21, s13, s24
	s_cmp_ge_u32 s13, s24
	s_wait_alu 0xfffe
	s_cselect_b32 s12, s20, s12
	s_cselect_b32 s13, s21, s13
	s_add_co_i32 s20, s12, 1
	s_cmp_ge_u32 s13, s24
	s_wait_alu 0xfffe
	s_cselect_b32 s26, s20, s12
.LBB0_12:
	v_mul_u32_u24_e32 v1, 0x2493, v0
	s_lshl_b64 s[10:11], s[10:11], 3
	s_load_b64 s[0:1], s[0:1], 0x58
	s_add_nc_u64 s[10:11], s[14:15], s[10:11]
	s_add_nc_u64 s[12:13], s[18:19], 7
	v_lshrrev_b32_e32 v24, 16, v1
	s_load_b64 s[10:11], s[10:11], 0x0
	v_cmp_le_u64_e64 s12, s[12:13], s[2:3]
	s_delay_alu instid0(VALU_DEP_2)
	v_mul_lo_u16 v1, v24, 7
	v_lshlrev_b32_e32 v25, 2, v24
	v_add_nc_u32_e32 v23, 17, v24
	v_add_nc_u32_e32 v22, 34, v24
	v_add_nc_u32_e32 v21, 51, v24
	v_sub_nc_u16 v1, v0, v1
	v_add_nc_u32_e32 v20, 0x44, v24
	v_add_nc_u32_e32 v19, 0x55, v24
	;; [unrolled: 1-line block ×4, first 2 shown]
	v_and_b32_e32 v26, 0xffff, v1
	v_add_nc_u32_e32 v16, 0x88, v24
	v_add_nc_u32_e32 v15, 0x99, v24
	;; [unrolled: 1-line block ×4, first 2 shown]
	v_add_co_u32 v1, s13, s18, v26
	s_wait_alu 0xf1ff
	v_add_co_ci_u32_e64 v2, null, s19, 0, s13
	v_add_nc_u32_e32 v12, 0xcc, v24
	v_mul_u32_u24_e32 v27, 0x484, v26
	v_add_nc_u32_e32 v11, 0xdd, v24
	s_delay_alu instid0(VALU_DEP_4)
	v_cmp_gt_u64_e32 vcc_lo, s[2:3], v[1:2]
	v_add_nc_u32_e32 v9, 0xee, v24
	v_add_nc_u32_e32 v10, 0xff, v24
	;; [unrolled: 1-line block ×3, first 2 shown]
	s_wait_kmcnt 0x0
	s_mul_u64 s[10:11], s[10:11], s[26:27]
	s_wait_alu 0xfffe
	s_add_nc_u64 s[2:3], s[10:11], s[22:23]
	s_mov_b32 s10, 0
	s_or_b32 s12, s12, vcc_lo
	s_wait_alu 0xfffe
	s_and_saveexec_b32 s11, s12
	s_cbranch_execz .LBB0_14
; %bb.13:
	v_mad_co_u64_u32 v[1:2], null, s6, v26, 0
	v_mad_co_u64_u32 v[3:4], null, s4, v24, 0
	;; [unrolled: 1-line block ×4, first 2 shown]
	s_lshl_b64 s[14:15], s[2:3], 2
	v_mad_co_u64_u32 v[38:39], null, s4, v18, 0
	s_delay_alu instid0(VALU_DEP_4) | instskip(SKIP_4) | instid1(VALU_DEP_4)
	v_mad_co_u64_u32 v[30:31], null, s7, v26, v[2:3]
	v_mad_co_u64_u32 v[31:32], null, s4, v21, 0
	;; [unrolled: 1-line block ×3, first 2 shown]
	v_mov_b32_e32 v7, v29
	s_add_nc_u64 s[14:15], s[0:1], s[14:15]
	v_mov_b32_e32 v2, v30
	v_mad_co_u64_u32 v[34:35], null, s4, v20, 0
	s_delay_alu instid0(VALU_DEP_3)
	v_mad_co_u64_u32 v[36:37], null, s5, v22, v[7:8]
	v_mov_b32_e32 v30, v32
	v_mov_b32_e32 v4, v33
	v_lshlrev_b64_e32 v[1:2], 2, v[1:2]
	v_mad_co_u64_u32 v[32:33], null, s5, v23, v[6:7]
	v_mad_co_u64_u32 v[40:41], null, s4, v16, 0
	s_delay_alu instid0(VALU_DEP_4) | instskip(NEXT) | instid1(VALU_DEP_4)
	v_lshlrev_b64_e32 v[3:4], 2, v[3:4]
	v_add_co_u32 v45, vcc_lo, s14, v1
	v_add_co_ci_u32_e32 v46, vcc_lo, s15, v2, vcc_lo
	v_mov_b32_e32 v6, v32
	s_delay_alu instid0(VALU_DEP_3) | instskip(SKIP_1) | instid1(VALU_DEP_3)
	v_add_co_u32 v1, vcc_lo, v45, v3
	s_wait_alu 0xfffd
	v_add_co_ci_u32_e32 v2, vcc_lo, v46, v4, vcc_lo
	s_delay_alu instid0(VALU_DEP_3) | instskip(SKIP_4) | instid1(VALU_DEP_4)
	v_lshlrev_b64_e32 v[3:4], 2, v[5:6]
	v_mov_b32_e32 v29, v36
	v_mad_co_u64_u32 v[5:6], null, s5, v21, v[30:31]
	v_mov_b32_e32 v6, v35
	v_mad_co_u64_u32 v[36:37], null, s4, v19, 0
	v_lshlrev_b64_e32 v[28:29], 2, v[28:29]
	v_add_co_u32 v3, vcc_lo, v45, v3
	v_mov_b32_e32 v32, v5
	v_mad_co_u64_u32 v[5:6], null, s5, v20, v[6:7]
	v_mov_b32_e32 v6, v37
	s_wait_alu 0xfffd
	v_add_co_ci_u32_e32 v4, vcc_lo, v46, v4, vcc_lo
	v_lshlrev_b64_e32 v[30:31], 2, v[31:32]
	v_mad_co_u64_u32 v[32:33], null, s4, v17, 0
	v_mov_b32_e32 v35, v5
	v_mad_co_u64_u32 v[5:6], null, s5, v19, v[6:7]
	v_mov_b32_e32 v6, v39
	v_add_co_u32 v28, vcc_lo, v45, v28
	s_delay_alu instid0(VALU_DEP_4)
	v_lshlrev_b64_e32 v[34:35], 2, v[34:35]
	s_wait_alu 0xfffd
	v_add_co_ci_u32_e32 v29, vcc_lo, v46, v29, vcc_lo
	v_mov_b32_e32 v37, v5
	v_mad_co_u64_u32 v[5:6], null, s5, v18, v[6:7]
	v_mov_b32_e32 v6, v33
	v_add_co_u32 v30, vcc_lo, v45, v30
	s_delay_alu instid0(VALU_DEP_4)
	v_lshlrev_b64_e32 v[36:37], 2, v[36:37]
	s_wait_alu 0xfffd
	v_add_co_ci_u32_e32 v31, vcc_lo, v46, v31, vcc_lo
	v_mad_co_u64_u32 v[6:7], null, s5, v17, v[6:7]
	v_mov_b32_e32 v39, v5
	v_mov_b32_e32 v7, v41
	v_add_co_u32 v34, vcc_lo, v45, v34
	s_wait_alu 0xfffd
	v_add_co_ci_u32_e32 v35, vcc_lo, v46, v35, vcc_lo
	v_mov_b32_e32 v33, v6
	v_lshlrev_b64_e32 v[5:6], 2, v[38:39]
	v_mad_co_u64_u32 v[38:39], null, s4, v15, 0
	v_mad_co_u64_u32 v[41:42], null, s5, v16, v[7:8]
	v_add_co_u32 v36, vcc_lo, v45, v36
	v_lshlrev_b64_e32 v[32:33], 2, v[32:33]
	s_wait_alu 0xfffd
	v_add_co_ci_u32_e32 v37, vcc_lo, v46, v37, vcc_lo
	v_mov_b32_e32 v7, v39
	v_add_co_u32 v5, vcc_lo, v45, v5
	s_wait_alu 0xfffd
	v_add_co_ci_u32_e32 v6, vcc_lo, v46, v6, vcc_lo
	s_delay_alu instid0(VALU_DEP_3)
	v_mad_co_u64_u32 v[42:43], null, s5, v15, v[7:8]
	v_mad_co_u64_u32 v[43:44], null, s4, v14, 0
	v_add_co_u32 v32, vcc_lo, v45, v32
	s_wait_alu 0xfffd
	v_add_co_ci_u32_e32 v33, vcc_lo, v46, v33, vcc_lo
	s_clause 0x7
	global_load_b32 v47, v[1:2], off
	global_load_b32 v48, v[3:4], off
	;; [unrolled: 1-line block ×8, first 2 shown]
	v_mad_co_u64_u32 v[4:5], null, s4, v13, 0
	v_mov_b32_e32 v3, v44
	v_mad_co_u64_u32 v[30:31], null, s4, v12, 0
	v_lshlrev_b64_e32 v[1:2], 2, v[40:41]
	s_delay_alu instid0(VALU_DEP_3) | instskip(SKIP_2) | instid1(VALU_DEP_4)
	v_mad_co_u64_u32 v[6:7], null, s5, v14, v[3:4]
	v_mov_b32_e32 v3, v5
	v_mov_b32_e32 v39, v42
	v_add_co_u32 v1, vcc_lo, v45, v1
	s_wait_alu 0xfffd
	v_add_co_ci_u32_e32 v2, vcc_lo, v46, v2, vcc_lo
	v_mov_b32_e32 v44, v6
	v_mad_co_u64_u32 v[32:33], null, s5, v13, v[3:4]
	v_mov_b32_e32 v3, v31
	v_lshlrev_b64_e32 v[28:29], 2, v[38:39]
	s_delay_alu instid0(VALU_DEP_2) | instskip(NEXT) | instid1(VALU_DEP_4)
	v_mad_co_u64_u32 v[34:35], null, s5, v12, v[3:4]
	v_mov_b32_e32 v5, v32
	v_mad_co_u64_u32 v[32:33], null, s4, v11, 0
	v_mad_co_u64_u32 v[35:36], null, s4, v9, 0
	s_delay_alu instid0(VALU_DEP_3)
	v_lshlrev_b64_e32 v[4:5], 2, v[4:5]
	v_add_co_u32 v6, vcc_lo, v45, v28
	s_wait_alu 0xfffd
	v_add_co_ci_u32_e32 v7, vcc_lo, v46, v29, vcc_lo
	v_mov_b32_e32 v3, v33
	v_lshlrev_b64_e32 v[28:29], 2, v[43:44]
	v_mov_b32_e32 v33, v36
	v_mov_b32_e32 v31, v34
	s_delay_alu instid0(VALU_DEP_4)
	v_mad_co_u64_u32 v[36:37], null, s5, v11, v[3:4]
	v_mad_co_u64_u32 v[37:38], null, s4, v10, 0
	v_add_co_u32 v28, vcc_lo, v45, v28
	v_mad_co_u64_u32 v[39:40], null, s5, v9, v[33:34]
	s_wait_alu 0xfffd
	v_add_co_ci_u32_e32 v29, vcc_lo, v46, v29, vcc_lo
	v_mad_co_u64_u32 v[40:41], null, s4, v8, 0
	v_add_co_u32 v3, vcc_lo, v45, v4
	s_wait_alu 0xfffd
	v_add_co_ci_u32_e32 v4, vcc_lo, v46, v5, vcc_lo
	v_mov_b32_e32 v5, v38
	v_dual_mov_b32 v33, v36 :: v_dual_mov_b32 v36, v39
	v_lshlrev_b64_e32 v[30:31], 2, v[30:31]
	s_delay_alu instid0(VALU_DEP_3) | instskip(SKIP_1) | instid1(VALU_DEP_4)
	v_mad_co_u64_u32 v[38:39], null, s5, v10, v[5:6]
	v_mov_b32_e32 v5, v41
	v_lshlrev_b64_e32 v[32:33], 2, v[32:33]
	s_delay_alu instid0(VALU_DEP_4) | instskip(SKIP_1) | instid1(VALU_DEP_4)
	v_add_co_u32 v30, vcc_lo, v45, v30
	v_lshlrev_b64_e32 v[34:35], 2, v[35:36]
	v_mad_co_u64_u32 v[41:42], null, s5, v8, v[5:6]
	s_wait_alu 0xfffd
	v_add_co_ci_u32_e32 v31, vcc_lo, v46, v31, vcc_lo
	v_add_co_u32 v32, vcc_lo, v45, v32
	v_lshlrev_b64_e32 v[36:37], 2, v[37:38]
	s_wait_alu 0xfffd
	v_add_co_ci_u32_e32 v33, vcc_lo, v46, v33, vcc_lo
	v_add_co_u32 v34, vcc_lo, v45, v34
	v_lshlrev_b64_e32 v[38:39], 2, v[40:41]
	s_wait_alu 0xfffd
	v_add_co_ci_u32_e32 v35, vcc_lo, v46, v35, vcc_lo
	v_add_co_u32 v36, vcc_lo, v45, v36
	s_wait_alu 0xfffd
	v_add_co_ci_u32_e32 v37, vcc_lo, v46, v37, vcc_lo
	v_add_co_u32 v38, vcc_lo, v45, v38
	s_wait_alu 0xfffd
	v_add_co_ci_u32_e32 v39, vcc_lo, v46, v39, vcc_lo
	s_clause 0x8
	global_load_b32 v1, v[1:2], off
	global_load_b32 v2, v[6:7], off
	;; [unrolled: 1-line block ×9, first 2 shown]
	v_add3_u32 v30, 0, v27, v25
	s_wait_loadcnt 0xf
	ds_store_2addr_b32 v30, v47, v48 offset1:17
	s_wait_loadcnt 0xd
	ds_store_2addr_b32 v30, v49, v50 offset0:34 offset1:51
	s_wait_loadcnt 0xb
	ds_store_2addr_b32 v30, v51, v52 offset0:68 offset1:85
	;; [unrolled: 2-line block ×7, first 2 shown]
	s_wait_loadcnt 0x0
	ds_store_b32 v30, v29 offset:1088
.LBB0_14:
	s_wait_alu 0xfffe
	s_or_b32 exec_lo, exec_lo, s11
	s_mov_b32 s14, 0x92481000
	s_movk_i32 s15, 0x64
	s_mov_b32 s11, s10
	v_and_b32_e32 v1, 0xffff, v0
	s_wait_alu 0xfffe
	s_add_nc_u64 s[14:15], s[10:11], s[14:15]
	s_mov_b32 s25, s10
	s_wait_alu 0xfffe
	s_add_co_i32 s15, s15, 0x249248c0
	global_wb scope:SCOPE_SE
	s_wait_dscnt 0x0
	s_wait_alu 0xfffe
	s_mul_u64 s[20:21], s[14:15], -7
	v_mul_u32_u24_e32 v1, 0xf10, v1
	s_wait_alu 0xfffe
	s_mul_hi_u32 s23, s14, s21
	s_mul_i32 s22, s14, s21
	s_mul_hi_u32 s24, s14, s20
	s_mul_i32 s13, s15, s20
	s_wait_alu 0xfffe
	s_add_nc_u64 s[22:23], s[24:25], s[22:23]
	s_mul_hi_u32 s11, s15, s20
	s_mul_hi_u32 s24, s15, s21
	s_add_co_u32 s13, s22, s13
	s_wait_alu 0xfffe
	s_add_co_ci_u32 s20, s23, s11
	s_add_co_ci_u32 s23, s24, 0
	s_mul_i32 s22, s15, s21
	s_mov_b32 s21, s10
	v_lshrrev_b32_e32 v5, 16, v1
	s_wait_alu 0xfffe
	s_add_nc_u64 s[10:11], s[20:21], s[22:23]
	s_barrier_signal -1
	s_wait_alu 0xfffe
	v_add_co_u32 v3, s10, s14, s10
	s_delay_alu instid0(VALU_DEP_1) | instskip(SKIP_4) | instid1(VALU_DEP_2)
	s_cmp_lg_u32 s10, 0
	v_add_co_u32 v29, s10, s18, v5
	s_wait_alu 0xf1ff
	v_add_co_ci_u32_e64 v6, null, s19, 0, s10
	s_add_co_ci_u32 s10, s15, s11
	v_mul_hi_u32 v7, v29, v3
	s_wait_alu 0xfffe
	v_mad_co_u64_u32 v[1:2], null, v29, s10, 0
	v_mad_co_u64_u32 v[3:4], null, v6, v3, 0
	s_barrier_wait -1
	global_inv scope:SCOPE_SE
	v_add_co_u32 v7, vcc_lo, v7, v1
	s_wait_alu 0xfffd
	v_add_co_ci_u32_e32 v28, vcc_lo, 0, v2, vcc_lo
	v_mad_co_u64_u32 v[1:2], null, v6, s10, 0
	s_delay_alu instid0(VALU_DEP_3) | instskip(SKIP_1) | instid1(VALU_DEP_3)
	v_add_co_u32 v3, vcc_lo, v7, v3
	s_wait_alu 0xfffd
	v_add_co_ci_u32_e32 v3, vcc_lo, v28, v4, vcc_lo
	s_wait_alu 0xfffd
	s_delay_alu instid0(VALU_DEP_3) | instskip(NEXT) | instid1(VALU_DEP_2)
	v_add_co_ci_u32_e32 v2, vcc_lo, 0, v2, vcc_lo
	v_add_co_u32 v1, vcc_lo, v3, v1
	s_wait_alu 0xfffd
	s_delay_alu instid0(VALU_DEP_2) | instskip(NEXT) | instid1(VALU_DEP_2)
	v_add_co_ci_u32_e32 v3, vcc_lo, 0, v2, vcc_lo
	v_mad_co_u64_u32 v[1:2], null, v1, 7, 0
	s_delay_alu instid0(VALU_DEP_1) | instskip(NEXT) | instid1(VALU_DEP_2)
	v_mad_co_u64_u32 v[2:3], null, v3, 7, v[2:3]
	v_sub_co_u32 v1, vcc_lo, v29, v1
	s_wait_alu 0xfffd
	s_delay_alu instid0(VALU_DEP_2) | instskip(NEXT) | instid1(VALU_DEP_2)
	v_sub_co_ci_u32_e32 v2, vcc_lo, v6, v2, vcc_lo
	v_sub_co_u32 v3, vcc_lo, v1, 7
	s_wait_alu 0xfffd
	s_delay_alu instid0(VALU_DEP_2) | instskip(NEXT) | instid1(VALU_DEP_2)
	v_subrev_co_ci_u32_e32 v4, vcc_lo, 0, v2, vcc_lo
	v_cmp_lt_u32_e32 vcc_lo, 6, v3
	s_wait_alu 0xfffd
	v_cndmask_b32_e64 v6, 0, -1, vcc_lo
	v_cmp_lt_u32_e32 vcc_lo, 6, v1
	s_wait_alu 0xfffd
	v_cndmask_b32_e64 v7, 0, -1, vcc_lo
	v_cmp_eq_u32_e32 vcc_lo, 0, v4
	s_wait_alu 0xfffd
	v_cndmask_b32_e32 v4, -1, v6, vcc_lo
	v_cmp_eq_u32_e32 vcc_lo, 0, v2
	v_add_nc_u32_e32 v6, -7, v3
	s_wait_alu 0xfffd
	v_cndmask_b32_e32 v2, -1, v7, vcc_lo
	v_cmp_ne_u32_e32 vcc_lo, 0, v4
	v_mul_lo_u16 v4, v5, 17
	s_wait_alu 0xfffd
	v_cndmask_b32_e32 v3, v3, v6, vcc_lo
	v_cmp_ne_u32_e32 vcc_lo, 0, v2
	s_delay_alu instid0(VALU_DEP_3) | instskip(SKIP_1) | instid1(VALU_DEP_1)
	v_sub_nc_u16 v0, v0, v4
	s_wait_alu 0xfffd
	v_dual_cndmask_b32 v1, v1, v3 :: v_dual_and_b32 v30, 0xffff, v0
	s_delay_alu instid0(VALU_DEP_1) | instskip(NEXT) | instid1(VALU_DEP_2)
	v_mul_u32_u24_e32 v1, 0x121, v1
	v_add_nc_u32_e32 v92, 0xbb, v30
	v_add_nc_u32_e32 v93, 0xcc, v30
	;; [unrolled: 1-line block ×4, first 2 shown]
	v_lshlrev_b32_e32 v0, 2, v1
	v_lshlrev_b32_e32 v1, 2, v30
	v_mul_lo_u32 v92, v29, v92
	v_mul_lo_u32 v93, v29, v93
	;; [unrolled: 1-line block ×3, first 2 shown]
	v_add_nc_u32_e32 v2, 0, v0
	v_add3_u32 v28, 0, v1, v0
	v_mul_lo_u32 v100, v29, v100
	s_delay_alu instid0(VALU_DEP_3) | instskip(NEXT) | instid1(VALU_DEP_3)
	v_add_nc_u32_e32 v31, v2, v1
	v_add_nc_u32_e32 v32, 0x200, v28
	ds_load_2addr_b32 v[38:39], v28 offset0:17 offset1:34
	ds_load_b32 v34, v31
	ds_load_2addr_b32 v[45:46], v32 offset0:127 offset1:144
	v_mad_u32_u24 v33, 0x44, v30, v2
	ds_load_2addr_b32 v[0:1], v28 offset0:119 offset1:136
	ds_load_2addr_b32 v[2:3], v28 offset0:153 offset1:170
	;; [unrolled: 1-line block ×6, first 2 shown]
	global_wb scope:SCOPE_SE
	s_wait_dscnt 0x0
	s_barrier_signal -1
	s_barrier_wait -1
	global_inv scope:SCOPE_SE
	v_and_b32_e32 v95, 0xff, v92
	v_lshrrev_b32_e32 v92, 6, v92
	v_and_b32_e32 v98, 0xff, v93
	v_lshrrev_b32_e32 v93, 6, v93
	s_delay_alu instid0(VALU_DEP_4) | instskip(NEXT) | instid1(VALU_DEP_4)
	v_lshlrev_b32_e32 v95, 2, v95
	v_and_b32_e32 v92, 0x3fc, v92
	s_delay_alu instid0(VALU_DEP_4) | instskip(NEXT) | instid1(VALU_DEP_4)
	v_lshlrev_b32_e32 v98, 2, v98
	v_and_b32_e32 v93, 0x3fc, v93
	v_pk_add_f16 v41, v34, v38
	v_pk_add_f16 v36, v46, v38
	v_pk_add_f16 v35, v38, v46 neg_lo:[0,1] neg_hi:[0,1]
	v_pk_add_f16 v38, v45, v39
	v_pk_add_f16 v37, v39, v45 neg_lo:[0,1] neg_hi:[0,1]
	v_pk_add_f16 v39, v41, v39
	v_lshrrev_b32_e32 v44, 16, v36
	v_lshrrev_b32_e32 v41, 16, v35
	v_mul_f16_e32 v47, 0xb964, v35
	v_mul_f16_e32 v52, 0xbb29, v35
	v_pk_add_f16 v39, v39, v50
	v_lshrrev_b32_e32 v40, 16, v34
	v_mul_f16_e32 v62, 0xb5c8, v41
	v_mul_f16_e32 v64, 0xbb29, v41
	;; [unrolled: 1-line block ×3, first 2 shown]
	v_pk_add_f16 v39, v39, v51
	v_mul_f16_e32 v68, 0xbbb2, v41
	v_mul_f16_e32 v70, 0xba62, v41
	;; [unrolled: 1-line block ×3, first 2 shown]
	v_pk_mul_f16 v43, 0x3b7639e9, v36
	v_pk_add_f16 v39, v39, v6
	v_lshrrev_b32_e32 v59, 16, v38
	v_mul_f16_e32 v60, 0xbbf7, v37
	v_mul_f16_e32 v61, 0xba62, v37
	v_fmamk_f16 v63, v44, 0x39e9, v47
	v_pk_add_f16 v39, v39, v7
	v_fma_f16 v47, v44, 0x39e9, -v47
	v_fmamk_f16 v65, v44, 0x3722, v52
	v_fma_f16 v82, v36, 0xbacd, -v41
	v_fmac_f16_e32 v41, 0xbacd, v36
	v_pk_add_f16 v39, v39, v0
	v_mul_f16_e32 v53, 0xbbf7, v35
	v_mul_f16_e32 v54, 0xbbb2, v35
	;; [unrolled: 1-line block ×4, first 2 shown]
	v_pk_add_f16 v39, v39, v1
	v_pk_mul_f16 v58, 0x39e92de8, v38
	v_pk_fma_f16 v42, 0xb964b5c8, v35, v43 op_sel:[0,0,1] op_sel_hi:[1,1,0] neg_lo:[0,1,0] neg_hi:[0,1,0]
	v_pk_fma_f16 v43, 0xb964b5c8, v35, v43 op_sel:[0,0,1] op_sel_hi:[1,1,0]
	v_fmamk_f16 v74, v59, 0x2de8, v60
	v_pk_add_f16 v39, v39, v2
	v_fma_f16 v60, v59, 0x2de8, -v60
	v_add_f16_e32 v47, v40, v47
	v_add_f16_e32 v65, v40, v65
	;; [unrolled: 1-line block ×3, first 2 shown]
	v_pk_add_f16 v39, v39, v3
	v_fmamk_f16 v41, v59, 0xb8d2, v61
	v_lshrrev_b32_e32 v57, 16, v37
	v_fma_f16 v52, v44, 0x3722, -v52
	v_fmamk_f16 v67, v44, 0x2de8, v53
	v_pk_add_f16 v39, v39, v4
	v_fma_f16 v53, v44, 0x2de8, -v53
	v_fmamk_f16 v69, v44, 0xb461, v54
	v_fma_f16 v54, v44, 0xb461, -v54
	v_fmamk_f16 v71, v44, 0xb8d2, v55
	v_pk_add_f16 v39, v39, v5
	v_fma_f16 v55, v44, 0xb8d2, -v55
	v_fmamk_f16 v72, v44, 0xbacd, v56
	v_fma_f16 v56, v44, 0xbacd, -v56
	v_pk_fma_f16 v44, 0xbbf7b964, v37, v58 op_sel:[0,0,1] op_sel_hi:[1,1,0] neg_lo:[0,1,0] neg_hi:[0,1,0]
	v_pk_add_f16 v39, v39, v48
	v_pk_fma_f16 v58, 0xbbf7b964, v37, v58 op_sel:[0,0,1] op_sel_hi:[1,1,0]
	v_bfi_b32 v77, 0xffff, v43, v42
	v_add_f16_e32 v63, v40, v63
	v_pk_add_f16 v43, v34, v43 op_sel:[1,0] op_sel_hi:[0,1]
	v_pk_add_f16 v39, v39, v49
	v_mul_f16_e32 v73, 0xb964, v57
	v_fma_f16 v76, v36, 0x3b76, -v62
	v_fma_f16 v79, v36, 0x2de8, -v66
	v_add_f16_e32 v67, v40, v67
	v_pk_add_f16 v39, v39, v45
	v_fmac_f16_e32 v66, 0x2de8, v36
	v_add_f16_e32 v63, v74, v63
	v_pk_add_f16 v45, v58, v43
	v_mul_f16_e32 v43, 0xb1e1, v57
	v_pk_add_f16 v39, v39, v46
	v_add_f16_e32 v46, v60, v47
	v_fma_f16 v47, v59, 0xb8d2, -v61
	v_add_f16_e32 v61, v41, v65
	v_mul_f16_e32 v41, 0xb1e1, v37
	v_mul_f16_e32 v75, 0xba62, v57
	v_fmac_f16_e32 v62, 0x3b76, v36
	v_fma_f16 v78, v36, 0x3722, -v64
	v_fmac_f16_e32 v64, 0x3722, v36
	v_fmamk_f16 v74, v59, 0xbbdd, v41
	v_add_f16_e32 v52, v40, v52
	v_add_f16_e32 v53, v40, v53
	v_fma_f16 v83, v38, 0x39e9, -v73
	v_add_f16_e32 v76, v34, v76
	v_add_f16_e32 v66, v34, v66
	v_fma_f16 v65, v38, 0xbbdd, -v43
	v_fmac_f16_e32 v43, 0xbbdd, v38
	v_fma_f16 v41, v59, 0xbbdd, -v41
	v_add_f16_e32 v67, v74, v67
	v_mul_f16_e32 v74, 0x3836, v37
	v_fma_f16 v80, v36, 0xb461, -v68
	v_add_f16_e32 v69, v40, v69
	v_fmac_f16_e32 v68, 0xb461, v36
	v_fma_f16 v81, v36, 0xb8d2, -v70
	v_fmac_f16_e32 v70, 0xb8d2, v36
	v_fmac_f16_e32 v73, 0x39e9, v38
	v_bfi_b32 v84, 0xffff, v58, v44
	v_fma_f16 v85, v38, 0xb8d2, -v75
	v_add_f16_e32 v62, v34, v62
	v_pk_add_f16 v77, v34, v77 op_sel:[1,0] op_sel_hi:[0,1]
	v_add_f16_e32 v64, v34, v64
	v_add_f16_e32 v58, v83, v76
	v_fmac_f16_e32 v75, 0xb8d2, v38
	v_add_f16_e32 v52, v47, v52
	v_mul_f16_e32 v47, 0x3836, v57
	v_add_f16_e32 v66, v43, v66
	v_add_f16_e32 v53, v41, v53
	v_mul_f16_e32 v43, 0x3bb2, v57
	v_fmamk_f16 v41, v59, 0xbacd, v74
	v_mul_f16_e32 v76, 0x3bb2, v37
	v_add_f16_e32 v71, v40, v71
	v_add_f16_e32 v68, v34, v68
	;; [unrolled: 1-line block ×4, first 2 shown]
	v_pk_add_f16 v73, v84, v77
	v_add_f16_e32 v64, v75, v64
	v_fma_f16 v75, v38, 0xbacd, -v47
	v_fmac_f16_e32 v47, 0xbacd, v38
	v_fma_f16 v77, v38, 0xb461, -v43
	v_add_f16_e32 v69, v41, v69
	v_fmamk_f16 v41, v59, 0xb461, v76
	v_fmac_f16_e32 v43, 0xb461, v38
	v_add_f16_e32 v54, v40, v54
	v_add_f16_e32 v55, v40, v55
	;; [unrolled: 1-line block ×4, first 2 shown]
	v_fma_f16 v74, v59, 0xbacd, -v74
	v_add_f16_e32 v68, v47, v68
	v_add_f16_e32 v71, v41, v71
	v_fma_f16 v47, v59, 0xb461, -v76
	v_mul_f16_e32 v57, 0x3b29, v57
	v_pk_add_f16 v41, v50, v49 neg_lo:[0,1] neg_hi:[0,1]
	v_add_f16_e32 v70, v43, v70
	v_pk_add_f16 v43, v49, v50
	v_add_f16_e32 v78, v34, v78
	v_add_f16_e32 v82, v34, v82
	;; [unrolled: 1-line block ×5, first 2 shown]
	v_mul_f16_e32 v76, 0x3b29, v37
	v_add_f16_e32 v55, v47, v55
	v_fma_f16 v47, v38, 0x3722, -v57
	v_lshrrev_b32_e32 v77, 16, v41
	v_pk_mul_f16 v79, 0x3722b8d2, v43
	v_add_f16_e32 v72, v40, v72
	v_add_f16_e32 v56, v40, v56
	;; [unrolled: 1-line block ×4, first 2 shown]
	v_fmamk_f16 v49, v59, 0x3722, v76
	v_add_f16_e32 v50, v47, v82
	v_mul_f16_e32 v78, 0xbb29, v77
	v_fma_f16 v59, v59, 0x3722, -v76
	v_pk_fma_f16 v47, 0xba62bb29, v41, v79 op_sel:[0,0,1] op_sel_hi:[1,1,0] neg_lo:[0,1,0] neg_hi:[0,1,0]
	v_pk_fma_f16 v76, 0xba62bb29, v41, v79 op_sel:[0,0,1] op_sel_hi:[1,1,0]
	v_add_f16_e32 v75, v75, v80
	v_add_f16_e32 v49, v49, v72
	v_fma_f16 v72, v43, 0x3722, -v78
	v_fmac_f16_e32 v78, 0x3722, v43
	v_lshrrev_b32_e32 v79, 16, v43
	v_mul_f16_e32 v80, 0xba62, v41
	v_add_f16_e32 v56, v59, v56
	v_bfi_b32 v59, 0xffff, v76, v47
	v_add_f16_e32 v58, v72, v58
	v_add_f16_e32 v62, v78, v62
	v_fmamk_f16 v72, v79, 0xb8d2, v80
	v_mul_f16_e32 v78, 0x31e1, v77
	v_pk_add_f16 v59, v59, v73
	v_fma_f16 v73, v79, 0xb8d2, -v80
	v_mul_f16_e32 v80, 0x31e1, v41
	v_add_f16_e32 v63, v72, v63
	v_fma_f16 v72, v43, 0xbbdd, -v78
	v_pk_add_f16 v76, v76, v45
	v_add_f16_e32 v73, v73, v46
	v_fmamk_f16 v45, v79, 0xbbdd, v80
	v_mul_f16_e32 v46, 0x3bb2, v77
	v_add_f16_e32 v60, v72, v60
	v_fmac_f16_e32 v78, 0xbbdd, v43
	v_fma_f16 v72, v79, 0xbbdd, -v80
	v_add_f16_e32 v61, v45, v61
	v_fma_f16 v45, v43, 0xb461, -v46
	v_mul_f16_e32 v80, 0x3bb2, v41
	v_add_f16_e32 v64, v78, v64
	v_add_f16_e32 v52, v72, v52
	v_mul_f16_e32 v72, 0x3964, v77
	v_add_f16_e32 v65, v45, v65
	v_fmamk_f16 v45, v79, 0xb461, v80
	v_fmac_f16_e32 v46, 0xb461, v43
	v_fma_f16 v78, v79, 0xb461, -v80
	v_mul_f16_e32 v81, 0x3964, v41
	v_fma_f16 v80, v43, 0x39e9, -v72
	v_add_f16_e32 v67, v45, v67
	v_add_f16_e32 v66, v46, v66
	;; [unrolled: 1-line block ×3, first 2 shown]
	v_fmamk_f16 v45, v79, 0x39e9, v81
	v_fmac_f16_e32 v72, 0x39e9, v43
	v_mul_f16_e32 v46, 0xb5c8, v77
	v_mul_f16_e32 v78, 0xb5c8, v41
	v_add_f16_e32 v75, v80, v75
	v_fma_f16 v80, v79, 0x39e9, -v81
	v_add_f16_e32 v69, v45, v69
	v_add_f16_e32 v68, v72, v68
	v_fma_f16 v45, v43, 0x3b76, -v46
	v_fmamk_f16 v72, v79, 0x3b76, v78
	v_mul_f16_e32 v77, 0xbbf7, v77
	v_fmac_f16_e32 v46, 0x3b76, v43
	v_fmac_f16_e32 v57, 0x3722, v38
	v_add_f16_e32 v54, v80, v54
	v_add_f16_e32 v71, v72, v71
	v_fma_f16 v72, v79, 0x3b76, -v78
	v_fma_f16 v78, v43, 0x2de8, -v77
	v_add_f16_e32 v70, v46, v70
	v_mul_f16_e32 v80, 0xbbf7, v41
	v_pk_add_f16 v46, v48, v51
	v_add_f16_e32 v57, v57, v86
	v_add_f16_e32 v74, v45, v74
	v_pk_add_f16 v45, v51, v48 neg_lo:[0,1] neg_hi:[0,1]
	v_add_f16_e32 v55, v72, v55
	v_add_f16_e32 v50, v78, v50
	v_fmac_f16_e32 v77, 0x2de8, v43
	v_fma_f16 v72, v79, 0x2de8, -v80
	v_pk_mul_f16 v78, 0x2de8bbdd, v46
	v_fmamk_f16 v48, v79, 0x2de8, v80
	v_lshrrev_b32_e32 v51, 16, v45
	v_add_f16_e32 v57, v77, v57
	v_add_f16_e32 v56, v72, v56
	v_pk_fma_f16 v72, 0xb1e1bbf7, v45, v78 op_sel:[0,0,1] op_sel_hi:[1,1,0] neg_lo:[0,1,0] neg_hi:[0,1,0]
	v_pk_fma_f16 v77, 0xb1e1bbf7, v45, v78 op_sel:[0,0,1] op_sel_hi:[1,1,0]
	v_add_f16_e32 v49, v48, v49
	v_mul_f16_e32 v48, 0xbbf7, v51
	v_lshrrev_b32_e32 v79, 16, v46
	v_mul_f16_e32 v80, 0xb1e1, v45
	v_bfi_b32 v81, 0xffff, v77, v72
	v_pk_add_f16 v76, v77, v76
	v_fma_f16 v78, v46, 0x2de8, -v48
	v_fmac_f16_e32 v48, 0x2de8, v46
	v_add_f16_e32 v40, v40, v42
	v_pk_add_f16 v59, v81, v59
	v_mul_f16_e32 v81, 0x3bb2, v45
	v_add_f16_e32 v58, v78, v58
	v_add_f16_e32 v62, v48, v62
	v_mul_f16_e32 v48, 0x3bb2, v51
	v_fmamk_f16 v78, v79, 0xbbdd, v80
	v_fma_f16 v80, v79, 0xbbdd, -v80
	v_fmamk_f16 v77, v79, 0xb461, v81
	v_add_f16_e32 v40, v44, v40
	v_fma_f16 v82, v46, 0xb461, -v48
	v_add_f16_e32 v63, v78, v63
	v_add_f16_e32 v73, v80, v73
	v_mul_f16_e32 v78, 0x35c8, v51
	v_fmac_f16_e32 v48, 0xb461, v46
	v_fma_f16 v80, v79, 0xb461, -v81
	v_add_f16_e32 v61, v77, v61
	v_mul_f16_e32 v77, 0x35c8, v45
	v_fma_f16 v81, v46, 0x3b76, -v78
	v_add_f16_e32 v64, v48, v64
	v_add_f16_e32 v52, v80, v52
	v_mul_f16_e32 v48, 0xbb29, v51
	v_fmamk_f16 v80, v79, 0x3b76, v77
	v_add_f16_e32 v65, v81, v65
	v_fmac_f16_e32 v78, 0x3b76, v46
	v_fma_f16 v77, v79, 0x3b76, -v77
	v_fma_f16 v81, v46, 0x3722, -v48
	v_add_f16_e32 v67, v80, v67
	v_mul_f16_e32 v80, 0xbb29, v45
	v_add_f16_e32 v66, v78, v66
	v_add_f16_e32 v53, v77, v53
	;; [unrolled: 1-line block ×3, first 2 shown]
	v_mul_f16_e32 v81, 0xb836, v45
	v_fmamk_f16 v78, v79, 0x3722, v80
	v_mul_f16_e32 v77, 0xb836, v51
	v_fmac_f16_e32 v48, 0x3722, v46
	v_add_f16_e32 v60, v82, v60
	v_fma_f16 v80, v79, 0x3722, -v80
	v_add_f16_e32 v69, v78, v69
	v_fmamk_f16 v78, v79, 0xbacd, v81
	v_fma_f16 v82, v46, 0xbacd, -v77
	v_add_f16_e32 v68, v48, v68
	v_fmac_f16_e32 v77, 0xbacd, v46
	v_mul_f16_e32 v51, 0x3a62, v51
	v_add_f16_e32 v71, v78, v71
	v_fma_f16 v78, v79, 0xbacd, -v81
	v_pk_add_f16 v48, v6, v5 neg_lo:[0,1] neg_hi:[0,1]
	v_add_f16_e32 v54, v80, v54
	v_add_f16_e32 v70, v77, v70
	v_mul_f16_e32 v77, 0x3a62, v45
	v_add_f16_e32 v55, v78, v55
	v_fma_f16 v78, v46, 0xb8d2, -v51
	v_lshrrev_b32_e32 v80, 16, v48
	v_pk_add_f16 v5, v5, v6
	v_fmamk_f16 v6, v79, 0xb8d2, v77
	v_fmac_f16_e32 v51, 0xb8d2, v46
	v_add_f16_e32 v50, v78, v50
	v_mul_f16_e32 v78, 0xbbb2, v80
	v_pk_mul_f16 v81, 0xb461bacd, v5
	v_add_f16_e32 v74, v82, v74
	v_add_f16_e32 v6, v6, v49
	;; [unrolled: 1-line block ×3, first 2 shown]
	v_fma_f16 v51, v79, 0xb8d2, -v77
	v_fma_f16 v57, v5, 0xb461, -v78
	v_pk_fma_f16 v77, 0x3836bbb2, v48, v81 op_sel:[0,0,1] op_sel_hi:[1,1,0] neg_lo:[0,1,0] neg_hi:[0,1,0]
	v_pk_fma_f16 v79, 0x3836bbb2, v48, v81 op_sel:[0,0,1] op_sel_hi:[1,1,0]
	v_fmac_f16_e32 v78, 0xb461, v5
	v_lshrrev_b32_e32 v81, 16, v5
	v_mul_f16_e32 v82, 0x3836, v48
	v_add_f16_e32 v51, v51, v56
	v_bfi_b32 v56, 0xffff, v79, v77
	v_add_f16_e32 v57, v57, v58
	v_add_f16_e32 v58, v78, v62
	v_fmamk_f16 v62, v81, 0xbacd, v82
	v_mul_f16_e32 v78, 0x3964, v80
	v_pk_add_f16 v56, v56, v59
	v_fma_f16 v59, v81, 0xbacd, -v82
	v_mul_f16_e32 v82, 0x3964, v48
	v_add_f16_e32 v62, v62, v63
	v_fma_f16 v63, v5, 0x39e9, -v78
	v_pk_add_f16 v76, v79, v76
	v_add_f16_e32 v59, v59, v73
	v_fmamk_f16 v73, v81, 0x39e9, v82
	v_mul_f16_e32 v79, 0xbb29, v80
	v_add_f16_e32 v60, v63, v60
	v_fma_f16 v63, v81, 0x39e9, -v82
	v_fmac_f16_e32 v78, 0x39e9, v5
	v_add_f16_e32 v61, v73, v61
	v_fma_f16 v73, v5, 0x3722, -v79
	v_mul_f16_e32 v82, 0xbb29, v48
	v_add_f16_e32 v52, v63, v52
	v_mul_f16_e32 v63, 0xb1e1, v80
	v_add_f16_e32 v64, v78, v64
	v_add_f16_e32 v65, v73, v65
	v_fmamk_f16 v73, v81, 0x3722, v82
	v_fmac_f16_e32 v79, 0x3722, v5
	v_fma_f16 v78, v81, 0x3722, -v82
	v_fma_f16 v82, v5, 0xbbdd, -v63
	v_mul_f16_e32 v83, 0xb1e1, v48
	v_add_f16_e32 v67, v73, v67
	v_add_f16_e32 v66, v79, v66
	;; [unrolled: 1-line block ×4, first 2 shown]
	v_fmamk_f16 v75, v81, 0xbbdd, v83
	v_fmac_f16_e32 v63, 0xbbdd, v5
	v_mul_f16_e32 v78, 0x3bf7, v80
	v_mul_f16_e32 v79, 0x3bf7, v48
	;; [unrolled: 1-line block ×3, first 2 shown]
	v_add_f16_e32 v69, v75, v69
	v_add_f16_e32 v63, v63, v68
	v_fma_f16 v68, v5, 0x2de8, -v78
	v_fmamk_f16 v75, v81, 0x2de8, v79
	v_fmac_f16_e32 v78, 0x2de8, v5
	v_fma_f16 v82, v81, 0xbbdd, -v83
	v_add_f16_e32 v40, v47, v40
	v_add_f16_e32 v68, v68, v74
	;; [unrolled: 1-line block ×3, first 2 shown]
	v_fma_f16 v74, v81, 0x2de8, -v79
	v_fma_f16 v75, v5, 0x3b76, -v80
	v_add_f16_e32 v70, v78, v70
	v_mul_f16_e32 v78, 0xb5c8, v48
	v_pk_add_f16 v79, v7, v4 neg_lo:[0,1] neg_hi:[0,1]
	v_pk_add_f16 v4, v4, v7
	v_add_f16_e32 v55, v74, v55
	v_add_f16_e32 v50, v75, v50
	v_fmamk_f16 v7, v81, 0x3b76, v78
	v_lshrrev_b32_e32 v74, 16, v79
	v_fma_f16 v75, v81, 0x3b76, -v78
	v_pk_mul_f16 v78, 0xb8d2b461, v4
	v_fmac_f16_e32 v80, 0x3b76, v5
	v_add_f16_e32 v6, v7, v6
	v_mul_f16_e32 v7, 0xba62, v74
	v_add_f16_e32 v51, v75, v51
	v_pk_fma_f16 v75, 0x3bb2ba62, v79, v78 op_sel:[0,0,1] op_sel_hi:[1,1,0] neg_lo:[0,1,0] neg_hi:[0,1,0]
	v_pk_fma_f16 v78, 0x3bb2ba62, v79, v78 op_sel:[0,0,1] op_sel_hi:[1,1,0]
	v_add_f16_e32 v54, v82, v54
	v_add_f16_e32 v49, v80, v49
	v_fma_f16 v80, v4, 0xb8d2, -v7
	v_fmac_f16_e32 v7, 0xb8d2, v4
	v_lshrrev_b32_e32 v81, 16, v4
	v_mul_f16_e32 v82, 0x3bb2, v79
	v_bfi_b32 v83, 0xffff, v78, v75
	v_add_f16_e32 v57, v80, v57
	v_add_f16_e32 v7, v7, v58
	v_mul_f16_e32 v58, 0xb5c8, v74
	v_fmamk_f16 v80, v81, 0xb461, v82
	v_pk_add_f16 v56, v83, v56
	v_fma_f16 v82, v81, 0xb461, -v82
	v_mul_f16_e32 v83, 0xb5c8, v79
	v_fma_f16 v84, v4, 0x3b76, -v58
	v_add_f16_e32 v62, v80, v62
	v_pk_add_f16 v76, v78, v76
	v_add_f16_e32 v59, v82, v59
	v_fmamk_f16 v78, v81, 0x3b76, v83
	v_fmac_f16_e32 v58, 0x3b76, v4
	v_mul_f16_e32 v80, 0xb836, v74
	v_fma_f16 v82, v81, 0x3b76, -v83
	v_add_f16_e32 v60, v84, v60
	v_add_f16_e32 v61, v78, v61
	v_mul_f16_e32 v78, 0xb836, v79
	v_add_f16_e32 v58, v58, v64
	v_fma_f16 v64, v4, 0xbacd, -v80
	v_add_f16_e32 v52, v82, v52
	v_mul_f16_e32 v82, 0x3bf7, v74
	v_fmac_f16_e32 v80, 0xbacd, v4
	v_fmamk_f16 v83, v81, 0xbacd, v78
	v_add_f16_e32 v64, v64, v65
	v_fma_f16 v65, v81, 0xbacd, -v78
	v_fma_f16 v78, v4, 0x2de8, -v82
	v_add_f16_e32 v66, v80, v66
	v_mul_f16_e32 v80, 0x3bf7, v79
	v_add_f16_e32 v67, v83, v67
	v_add_f16_e32 v53, v65, v53
	;; [unrolled: 1-line block ×3, first 2 shown]
	v_mul_f16_e32 v73, 0xb964, v74
	v_mul_f16_e32 v78, 0xb964, v79
	v_fmamk_f16 v83, v81, 0x2de8, v80
	v_fma_f16 v80, v81, 0x2de8, -v80
	v_fmac_f16_e32 v82, 0x2de8, v4
	v_fma_f16 v84, v4, 0x39e9, -v73
	v_fmamk_f16 v85, v81, 0x39e9, v78
	v_fmac_f16_e32 v73, 0x39e9, v4
	v_add_f16_e32 v54, v80, v54
	v_fma_f16 v78, v81, 0x39e9, -v78
	v_mul_f16_e32 v74, 0xb1e1, v74
	v_pk_add_f16 v80, v0, v3 neg_lo:[0,1] neg_hi:[0,1]
	v_add_f16_e32 v63, v82, v63
	v_mul_f16_e32 v82, 0xb1e1, v79
	v_add_f16_e32 v70, v73, v70
	v_add_f16_e32 v55, v78, v55
	v_fma_f16 v73, v4, 0xbbdd, -v74
	v_lshrrev_b32_e32 v78, 16, v80
	v_pk_add_f16 v0, v3, v0
	v_add_f16_e32 v69, v83, v69
	v_fmamk_f16 v83, v81, 0xbbdd, v82
	v_fmac_f16_e32 v74, 0xbbdd, v4
	v_add_f16_e32 v3, v73, v50
	v_mul_f16_e32 v50, 0xb836, v78
	v_pk_mul_f16 v73, 0xbacd3722, v0
	v_add_f16_e32 v68, v84, v68
	v_add_f16_e32 v6, v83, v6
	;; [unrolled: 1-line block ×3, first 2 shown]
	v_fma_f16 v74, v81, 0xbbdd, -v82
	v_fma_f16 v81, v0, 0xbacd, -v50
	v_fmac_f16_e32 v50, 0xbacd, v0
	v_pk_fma_f16 v82, 0x3b29b836, v80, v73 op_sel:[0,0,1] op_sel_hi:[1,1,0] neg_lo:[0,1,0] neg_hi:[0,1,0]
	v_pk_fma_f16 v73, 0x3b29b836, v80, v73 op_sel:[0,0,1] op_sel_hi:[1,1,0]
	v_lshrrev_b32_e32 v83, 16, v0
	v_mul_f16_e32 v84, 0x3b29, v80
	v_add_f16_e32 v51, v74, v51
	v_add_f16_e32 v57, v81, v57
	v_bfi_b32 v74, 0xffff, v73, v82
	v_add_f16_e32 v7, v50, v7
	v_fmamk_f16 v50, v83, 0x3722, v84
	v_mul_f16_e32 v81, 0xbbf7, v78
	v_mul_f16_e32 v86, 0x3a62, v78
	v_pk_add_f16 v56, v74, v56
	v_fma_f16 v74, v83, 0x3722, -v84
	v_add_f16_e32 v50, v50, v62
	v_fma_f16 v62, v0, 0x2de8, -v81
	v_add_f16_e32 v71, v85, v71
	v_mul_f16_e32 v85, 0xbbf7, v80
	v_add_f16_e32 v59, v74, v59
	v_mul_f16_e32 v74, 0x3a62, v80
	v_add_f16_e32 v60, v62, v60
	v_fma_f16 v62, v0, 0xb8d2, -v86
	v_mul_f16_e32 v87, 0xb5c8, v80
	v_fmamk_f16 v84, v83, 0x2de8, v85
	v_fmac_f16_e32 v81, 0x2de8, v0
	v_fmac_f16_e32 v86, 0xb8d2, v0
	v_add_f16_e32 v62, v62, v64
	v_fmamk_f16 v64, v83, 0xb8d2, v74
	v_fma_f16 v74, v83, 0xb8d2, -v74
	v_add_f16_e32 v61, v84, v61
	v_mul_f16_e32 v84, 0xb5c8, v78
	v_mul_f16_e32 v42, 0x3964, v78
	v_add_f16_e32 v64, v64, v67
	v_add_f16_e32 v53, v74, v53
	v_fmamk_f16 v67, v83, 0x3b76, v87
	v_mul_f16_e32 v74, 0xb1e1, v78
	v_add_f16_e32 v58, v81, v58
	v_fma_f16 v81, v83, 0x2de8, -v85
	v_fma_f16 v85, v0, 0x3b76, -v84
	v_add_f16_e32 v67, v67, v69
	v_fma_f16 v69, v0, 0xbbdd, -v74
	v_fmac_f16_e32 v74, 0xbbdd, v0
	v_add_f16_e32 v66, v86, v66
	v_fmac_f16_e32 v84, 0x3b76, v0
	v_mul_f16_e32 v86, 0xb1e1, v80
	v_fma_f16 v44, v0, 0x39e9, -v42
	v_add_f16_e32 v70, v74, v70
	v_pk_add_f16 v74, v1, v2 neg_lo:[0,1] neg_hi:[0,1]
	v_add_f16_e32 v63, v84, v63
	v_fmamk_f16 v84, v83, 0xbbdd, v86
	v_mul_f16_e32 v78, 0x3964, v80
	v_add_f16_e32 v3, v44, v3
	v_lshrrev_b32_e32 v44, 16, v74
	v_add_f16_e32 v68, v69, v68
	v_add_f16_e32 v69, v84, v71
	v_fma_f16 v71, v83, 0xbbdd, -v86
	v_fmamk_f16 v47, v83, 0x39e9, v78
	v_fmac_f16_e32 v42, 0x39e9, v0
	v_add_f16_e32 v40, v72, v40
	v_pk_add_f16 v1, v2, v1
	v_mul_f16_e32 v2, 0xb1e1, v44
	v_add_f16_e32 v55, v71, v55
	v_add_f16_e32 v6, v47, v6
	;; [unrolled: 1-line block ×4, first 2 shown]
	v_fma_f16 v47, v83, 0x39e9, -v78
	v_fma_f16 v49, v1, 0xbbdd, -v2
	v_fmac_f16_e32 v2, 0xbbdd, v1
	v_pk_mul_f16 v71, 0xbbdd3b76, v1
	v_add_f16_e32 v40, v75, v40
	v_add_f16_e32 v47, v47, v51
	;; [unrolled: 1-line block ×4, first 2 shown]
	v_pk_fma_f16 v7, 0x35c8b1e1, v74, v71 op_sel:[0,0,1] op_sel_hi:[1,1,0] neg_lo:[0,1,0] neg_hi:[0,1,0]
	v_pk_fma_f16 v51, 0x35c8b1e1, v74, v71 op_sel:[0,0,1] op_sel_hi:[1,1,0]
	v_add_f16_e32 v40, v82, v40
	v_lshrrev_b32_e32 v57, 16, v1
	v_mul_f16_e32 v72, 0x35c8, v74
	v_mul_f16_e32 v77, 0xb836, v44
	v_bfi_b32 v51, 0xffff, v51, v7
	v_add_f16_e32 v7, v7, v40
	v_add_f16_e32 v65, v85, v65
	v_fmamk_f16 v40, v57, 0x3b76, v72
	v_fma_f16 v72, v57, 0x3b76, -v72
	v_fma_f16 v78, v1, 0xbacd, -v77
	v_pk_add_f16 v51, v51, v56
	v_mul_f16_e32 v56, 0xbacd, v57
	v_add_f16_e32 v40, v40, v50
	v_add_f16_e32 v50, v72, v59
	;; [unrolled: 1-line block ×3, first 2 shown]
	v_mul_f16_e32 v60, 0x3964, v44
	v_fmamk_f16 v72, v74, 0xb836, v56
	v_fma_f16 v85, v83, 0x3b76, -v87
	v_pk_mul_f16 v36, 0xbbdd, v36 op_sel_hi:[0,1]
	v_fmac_f16_e32 v77, 0xbacd, v1
	v_fma_f16 v83, v1, 0x39e9, -v60
	v_add_f16_e32 v61, v72, v61
	v_mul_f16_e32 v72, 0xba62, v44
	v_mul_f16_e32 v82, 0x3964, v74
	v_add_f16_e32 v58, v77, v58
	v_add_f16_e32 v62, v83, v62
	v_pk_mul_f16 v5, 0xb8d2, v5 op_sel_hi:[0,1]
	v_fma_f16 v83, v1, 0xb8d2, -v72
	v_fmac_f16_e32 v72, 0xb8d2, v1
	v_fmamk_f16 v77, v57, 0x39e9, v82
	v_fma_f16 v82, v57, 0x39e9, -v82
	v_pk_mul_f16 v4, 0x3722, v4 op_sel_hi:[0,1]
	v_add_f16_e32 v65, v83, v65
	v_mul_f16_e32 v83, 0x3b29, v74
	v_add_f16_e32 v63, v72, v63
	v_add_f16_e32 v64, v77, v64
	v_mul_f16_e32 v77, 0xba62, v74
	v_fmac_f16_e32 v60, 0x39e9, v1
	v_fma_f16 v72, v57, 0x3722, -v83
	v_add_f16_e32 v54, v85, v54
	v_add_f16_e32 v53, v82, v53
	v_fmamk_f16 v82, v57, 0xb8d2, v77
	v_fma_f16 v77, v57, 0xb8d2, -v77
	v_add_f16_e32 v55, v72, v55
	v_pk_fma_f16 v72, 0xb1e1, v35, v36 op_sel:[0,0,1] op_sel_hi:[0,1,0] neg_lo:[0,1,0] neg_hi:[0,1,0]
	v_pk_fma_f16 v35, 0xb1e1, v35, v36 op_sel:[0,0,1] op_sel_hi:[0,1,0]
	v_pk_mul_f16 v36, 0x3b76, v38 op_sel_hi:[0,1]
	v_pk_mul_f16 v0, 0xb461, v0 op_sel_hi:[0,1]
	v_add_f16_e32 v60, v60, v66
	v_pk_add_f16 v38, v34, v72 op_sel:[1,0] op_sel_hi:[0,1]
	v_pk_add_f16 v34, v34, v35 op_sel:[1,0] op_sel_hi:[0,1]
	v_pk_fma_f16 v35, 0x35c8, v37, v36 op_sel:[0,0,1] op_sel_hi:[0,1,0] neg_lo:[0,1,0] neg_hi:[0,1,0]
	v_pk_fma_f16 v36, 0x35c8, v37, v36 op_sel:[0,0,1] op_sel_hi:[0,1,0]
	v_pk_mul_f16 v37, 0xbacd, v43 op_sel_hi:[0,1]
	v_mul_f16_e32 v66, 0x3b29, v44
	v_mul_f16_e32 v78, 0xb836, v74
	v_pk_add_f16 v35, v35, v38
	v_pk_add_f16 v34, v36, v34
	v_pk_fma_f16 v36, 0xb836, v41, v37 op_sel:[0,0,1] op_sel_hi:[0,1,0] neg_lo:[0,1,0] neg_hi:[0,1,0]
	v_pk_fma_f16 v37, 0xb836, v41, v37 op_sel:[0,0,1] op_sel_hi:[0,1,0]
	v_pk_mul_f16 v38, 0x39e9, v46 op_sel_hi:[0,1]
	v_add_f16_e32 v67, v82, v67
	v_fmamk_f16 v82, v57, 0x3722, v83
	v_pk_add_f16 v35, v36, v35
	v_pk_add_f16 v34, v37, v34
	v_pk_fma_f16 v36, 0x3964, v45, v38 op_sel:[0,0,1] op_sel_hi:[0,1,0] neg_lo:[0,1,0] neg_hi:[0,1,0]
	v_pk_fma_f16 v37, 0x3964, v45, v38 op_sel:[0,0,1] op_sel_hi:[0,1,0]
	v_add_f16_e32 v54, v77, v54
	v_mul_f16_e32 v44, 0xbbb2, v44
	v_mul_f16_e32 v77, 0xbbb2, v74
	v_pk_add_f16 v35, v36, v35
	v_pk_add_f16 v34, v37, v34
	v_pk_fma_f16 v36, 0xba62, v48, v5 op_sel:[0,0,1] op_sel_hi:[0,1,0] neg_lo:[0,1,0] neg_hi:[0,1,0]
	v_pk_fma_f16 v5, 0xba62, v48, v5 op_sel:[0,0,1] op_sel_hi:[0,1,0]
	v_fma_f16 v84, v1, 0x3722, -v66
	v_fmac_f16_e32 v66, 0x3722, v1
	v_pk_mul_f16 v75, 0x35c8b1e1, v74
	v_pk_add_f16 v35, v36, v35
	v_pk_add_f16 v5, v5, v34
	v_pk_fma_f16 v34, 0x3b29, v79, v4 op_sel:[0,0,1] op_sel_hi:[0,1,0] neg_lo:[0,1,0] neg_hi:[0,1,0]
	v_pk_fma_f16 v4, 0x3b29, v79, v4 op_sel:[0,0,1] op_sel_hi:[0,1,0]
	v_add_f16_e32 v69, v82, v69
	v_fma_f16 v82, v1, 0xb461, -v44
	v_fmac_f16_e32 v44, 0xb461, v1
	v_fma_f16 v43, v57, 0xb461, -v77
	v_pk_add_f16 v4, v4, v5
	v_pk_fma_f16 v5, 0xbbb2, v80, v0 op_sel:[0,0,1] op_sel_hi:[0,1,0] neg_lo:[0,1,0] neg_hi:[0,1,0]
	v_pk_fma_f16 v0, 0xbbb2, v80, v0 op_sel:[0,0,1] op_sel_hi:[0,1,0]
	v_pk_add_f16 v34, v34, v35
	v_pk_mul_f16 v1, 0x2de8, v1 op_sel_hi:[0,1]
	v_add_f16_e32 v66, v66, v70
	v_fmamk_f16 v70, v57, 0xb461, v77
	v_pk_add_f16 v0, v0, v4
	v_bfi_b32 v4, 0xffff, v78, v76
	v_add_f16_e32 v42, v44, v42
	v_add_f16_e32 v41, v43, v47
	v_pk_add_f16 v5, v5, v34
	v_pk_fma_f16 v34, 0x3bf7, v74, v1 op_sel:[0,0,1] op_sel_hi:[0,1,0] neg_lo:[0,1,0] neg_hi:[0,1,0]
	v_pk_fma_f16 v1, 0x3bf7, v74, v1 op_sel:[0,0,1] op_sel_hi:[0,1,0]
	v_pack_b32_f16 v43, v81, v71
	v_bfi_b32 v44, 0xffff, v52, v75
	v_pk_add_f16 v4, v56, v4 neg_lo:[0,1] neg_hi:[0,1]
	v_pk_add_f16 v45, v73, v76
	v_add_f16_e32 v3, v82, v3
	v_add_f16_e32 v6, v70, v6
	v_pk_add_f16 v0, v1, v0
	v_pk_add_f16 v1, v43, v44
	v_bfi_b32 v4, 0xffff, v4, v45
	v_add_f16_e32 v68, v84, v68
	v_pack_b32_f16 v3, v3, v6
	v_pk_add_f16 v5, v34, v5
	v_alignbit_b32 v37, v40, v51, 16
	v_pack_b32_f16 v36, v49, v51
	v_pk_add_f16 v1, v4, v1
	v_pack_b32_f16 v38, v62, v64
	v_pack_b32_f16 v35, v59, v61
	v_pack_b32_f16 v40, v68, v69
	v_pack_b32_f16 v6, v65, v67
	ds_store_2addr_b32 v33, v39, v3 offset1:7
	v_alignbit_b32 v3, v5, v0, 16
	v_alignbit_b32 v0, v0, v5, 16
	v_pack_b32_f16 v4, v66, v55
	v_pack_b32_f16 v5, v42, v41
	v_pack_b32_f16 v34, v60, v53
	v_pack_b32_f16 v39, v63, v54
	v_alignbit_b32 v41, v50, v1, 16
	v_pack_b32_f16 v1, v58, v1
	v_pack_b32_f16 v2, v2, v7
	ds_store_2addr_b32 v33, v36, v37 offset0:1 offset1:2
	ds_store_2addr_b32 v33, v35, v38 offset0:3 offset1:4
	;; [unrolled: 1-line block ×7, first 2 shown]
	ds_store_b32 v33, v2 offset:64
	v_lshlrev_b32_e32 v4, 6, v30
	global_wb scope:SCOPE_SE
	s_wait_dscnt 0x0
	s_barrier_signal -1
	s_barrier_wait -1
	global_inv scope:SCOPE_SE
	s_clause 0x3
	global_load_b128 v[0:3], v4, s[16:17]
	global_load_b128 v[43:46], v4, s[16:17] offset:16
	global_load_b128 v[47:50], v4, s[16:17] offset:32
	;; [unrolled: 1-line block ×3, first 2 shown]
	ds_load_2addr_b32 v[4:5], v28 offset0:51 offset1:68
	ds_load_2addr_b32 v[6:7], v28 offset0:85 offset1:102
	;; [unrolled: 1-line block ×8, first 2 shown]
	ds_load_b32 v61, v31
	ds_load_u16 v31, v28 offset:206
	s_wait_dscnt 0x9
	v_lshrrev_b32_e32 v34, 16, v5
	s_wait_dscnt 0x8
	v_lshrrev_b32_e32 v62, 16, v6
	v_lshrrev_b32_e32 v63, 16, v7
	s_wait_dscnt 0x7
	v_lshrrev_b32_e32 v64, 16, v35
	;; [unrolled: 3-line block ×4, first 2 shown]
	v_lshrrev_b32_e32 v42, 16, v33
	v_lshrrev_b32_e32 v68, 16, v55
	v_lshrrev_b32_e32 v69, 16, v56
	v_lshrrev_b32_e32 v70, 16, v57
	v_lshrrev_b32_e32 v71, 16, v58
	v_lshrrev_b32_e32 v72, 16, v59
	v_lshrrev_b32_e32 v73, 16, v60
	s_wait_loadcnt 0x3
	v_lshrrev_b32_e32 v37, 16, v0
	v_lshrrev_b32_e32 v41, 16, v1
	;; [unrolled: 1-line block ×3, first 2 shown]
	s_delay_alu instid0(VALU_DEP_3)
	v_mul_f16_e32 v75, v37, v38
	v_mul_f16_e32 v76, v37, v32
	v_lshrrev_b32_e32 v37, 16, v3
	v_mul_f16_e32 v77, v41, v42
	v_mul_f16_e32 v78, v41, v33
	v_fma_f16 v75, v0, v32, -v75
	v_fmac_f16_e32 v76, v0, v38
	s_wait_dscnt 0x0
	v_mul_f16_e32 v0, v31, v74
	v_fma_f16 v77, v1, v33, -v77
	v_fmac_f16_e32 v78, v1, v42
	v_mul_f16_e32 v74, v74, v4
	v_mul_f16_e32 v1, v34, v37
	v_fma_f16 v79, v2, v4, -v0
	s_wait_loadcnt 0x2
	v_lshrrev_b32_e32 v0, 16, v43
	v_mul_f16_e32 v41, v5, v37
	v_fmac_f16_e32 v74, v31, v2
	v_fma_f16 v42, v5, v3, -v1
	v_lshrrev_b32_e32 v1, 16, v44
	v_mul_f16_e32 v2, v62, v0
	v_mul_f16_e32 v37, v6, v0
	v_lshrrev_b32_e32 v0, 16, v45
	v_lshrrev_b32_e32 v4, 16, v46
	v_fmac_f16_e32 v41, v34, v3
	v_mul_f16_e32 v3, v63, v1
	v_fma_f16 v38, v6, v43, -v2
	v_mul_f16_e32 v33, v7, v1
	v_mul_f16_e32 v1, v64, v0
	;; [unrolled: 1-line block ×3, first 2 shown]
	v_fmac_f16_e32 v37, v62, v43
	v_fma_f16 v34, v7, v44, -v3
	v_lshrrev_b32_e32 v43, 16, v61
	v_fma_f16 v7, v35, v45, -v1
	v_fma_f16 v1, v36, v46, -v2
	s_wait_loadcnt 0x1
	v_lshrrev_b32_e32 v2, 16, v47
	v_add_f16_e32 v5, v75, v61
	v_mul_f16_e32 v6, v35, v0
	v_mul_f16_e32 v0, v36, v4
	v_add_f16_e32 v31, v76, v43
	v_mul_f16_e32 v32, v66, v2
	v_mul_f16_e32 v4, v39, v2
	v_add_f16_e32 v2, v5, v77
	v_lshrrev_b32_e32 v3, 16, v48
	v_add_f16_e32 v31, v31, v78
	v_lshrrev_b32_e32 v36, 16, v49
	v_fma_f16 v5, v39, v47, -v32
	v_add_f16_e32 v2, v2, v79
	v_mul_f16_e32 v35, v67, v3
	v_add_f16_e32 v32, v31, v74
	v_mul_f16_e32 v31, v40, v3
	v_mul_f16_e32 v3, v68, v36
	v_add_f16_e32 v2, v2, v42
	v_fmac_f16_e32 v33, v63, v44
	v_add_f16_e32 v39, v32, v41
	v_fma_f16 v32, v40, v48, -v35
	v_fma_f16 v35, v55, v49, -v3
	v_add_f16_e32 v2, v2, v38
	v_fmac_f16_e32 v6, v64, v45
	v_add_f16_e32 v3, v39, v37
	v_fmac_f16_e32 v0, v65, v46
	v_lshrrev_b32_e32 v44, 16, v50
	v_add_f16_e32 v2, v2, v34
	v_fmac_f16_e32 v4, v66, v47
	v_add_f16_e32 v3, v3, v33
	v_fmac_f16_e32 v31, v67, v48
	v_mul_f16_e32 v36, v55, v36
	v_add_f16_e32 v2, v2, v7
	v_mul_f16_e32 v40, v69, v44
	v_add_f16_e32 v3, v3, v6
	v_mul_f16_e32 v39, v56, v44
	s_wait_loadcnt 0x0
	v_lshrrev_b32_e32 v44, 16, v51
	v_add_f16_e32 v2, v2, v1
	v_fmac_f16_e32 v36, v68, v49
	v_add_f16_e32 v3, v3, v0
	v_fma_f16 v40, v56, v50, -v40
	v_lshrrev_b32_e32 v45, 16, v52
	v_add_f16_e32 v2, v2, v5
	v_mul_f16_e32 v47, v70, v44
	v_add_f16_e32 v3, v3, v4
	v_mul_f16_e32 v44, v57, v44
	v_lshrrev_b32_e32 v48, 16, v54
	v_add_f16_e32 v2, v2, v32
	v_fmac_f16_e32 v39, v69, v50
	v_add_f16_e32 v3, v3, v31
	v_lshrrev_b32_e32 v46, 16, v53
	v_fma_f16 v47, v57, v51, -v47
	v_add_f16_e32 v2, v2, v35
	v_fmac_f16_e32 v44, v70, v51
	v_mul_f16_e32 v49, v71, v45
	v_add_f16_e32 v3, v3, v36
	v_mul_f16_e32 v51, v60, v48
	v_add_f16_e32 v2, v2, v40
	v_mul_f16_e32 v45, v58, v45
	v_mul_f16_e32 v50, v72, v46
	v_fma_f16 v49, v58, v52, -v49
	v_add_f16_e32 v3, v3, v39
	v_mul_f16_e32 v48, v73, v48
	v_fmac_f16_e32 v51, v73, v54
	v_add_f16_e32 v2, v2, v47
	v_fmac_f16_e32 v45, v71, v52
	v_fma_f16 v50, v59, v53, -v50
	v_mul_f16_e32 v46, v59, v46
	v_add_f16_e32 v3, v3, v44
	v_fma_f16 v48, v60, v54, -v48
	v_sub_f16_e32 v52, v76, v51
	v_add_f16_e32 v2, v2, v49
	v_fmac_f16_e32 v46, v72, v53
	v_add_f16_e32 v3, v3, v45
	v_add_f16_e32 v53, v75, v48
	v_mul_f16_e32 v55, 0xb5c8, v52
	v_add_f16_e32 v2, v2, v50
	v_sub_f16_e32 v54, v75, v48
	v_add_f16_e32 v56, v3, v46
	v_mul_f16_e32 v62, 0xbb29, v52
	v_fma_f16 v59, v53, 0x3b76, -v55
	v_add_f16_e32 v3, v2, v48
	v_mul_f16_e32 v48, 0xb964, v52
	v_mul_f16_e32 v67, 0xbbf7, v52
	;; [unrolled: 1-line block ×6, first 2 shown]
	v_add_f16_e32 v57, v76, v51
	v_mul_f16_e32 v58, 0xb5c8, v54
	v_add_f16_e32 v2, v56, v51
	v_add_f16_e32 v56, v59, v61
	v_fmac_f16_e32 v55, 0x3b76, v53
	v_fma_f16 v59, v53, 0x39e9, -v48
	v_mul_f16_e32 v60, 0xb964, v54
	v_fmac_f16_e32 v48, 0x39e9, v53
	v_mul_f16_e32 v64, 0xbb29, v54
	v_fma_f16 v65, v53, 0x3722, -v62
	v_fmac_f16_e32 v62, 0x3722, v53
	v_mul_f16_e32 v68, 0xbbf7, v54
	v_fma_f16 v69, v53, 0x2de8, -v67
	v_fmac_f16_e32 v67, 0x2de8, v53
	v_fma_f16 v72, v53, 0xb461, -v70
	v_mul_f16_e32 v73, 0xbbb2, v54
	v_fmac_f16_e32 v70, 0xb461, v53
	v_mul_f16_e32 v80, 0xba62, v54
	v_fma_f16 v81, v53, 0xb8d2, -v75
	v_fmac_f16_e32 v75, 0xb8d2, v53
	v_mul_f16_e32 v84, 0xb836, v54
	v_fma_f16 v85, v53, 0xbacd, -v83
	v_fmac_f16_e32 v83, 0xbacd, v53
	v_fma_f16 v87, v53, 0xbbdd, -v52
	v_mul_f16_e32 v54, 0xb1e1, v54
	v_sub_f16_e32 v88, v78, v46
	v_fmac_f16_e32 v52, 0xbbdd, v53
	v_sub_f16_e32 v53, v77, v50
	v_fmamk_f16 v51, v57, 0x3b76, v58
	v_fma_f16 v58, v57, 0x3b76, -v58
	v_fmamk_f16 v63, v57, 0x39e9, v60
	v_fma_f16 v60, v57, 0x39e9, -v60
	;; [unrolled: 2-line block ×7, first 2 shown]
	v_fmamk_f16 v89, v57, 0xbbdd, v54
	v_add_f16_e32 v50, v77, v50
	v_mul_f16_e32 v77, 0xb964, v88
	v_fma_f16 v54, v57, 0xbbdd, -v54
	v_add_f16_e32 v46, v78, v46
	v_mul_f16_e32 v57, 0xb964, v53
	v_add_f16_e32 v51, v51, v43
	v_add_f16_e32 v55, v55, v61
	;; [unrolled: 1-line block ×29, first 2 shown]
	v_fma_f16 v89, v50, 0x39e9, -v77
	v_add_f16_e32 v52, v52, v61
	v_add_f16_e32 v43, v54, v43
	v_fmamk_f16 v54, v46, 0x39e9, v57
	v_mul_f16_e32 v61, 0xbbf7, v88
	v_fma_f16 v57, v46, 0x39e9, -v57
	v_add_f16_e32 v56, v89, v56
	v_fmac_f16_e32 v77, 0x39e9, v50
	v_add_f16_e32 v51, v54, v51
	v_fma_f16 v54, v50, 0x2de8, -v61
	v_mul_f16_e32 v89, 0xbbf7, v53
	v_add_f16_e32 v57, v57, v58
	v_mul_f16_e32 v58, 0xba62, v88
	v_add_f16_e32 v55, v77, v55
	v_add_f16_e32 v54, v54, v59
	v_fmamk_f16 v59, v46, 0x2de8, v89
	v_fmac_f16_e32 v61, 0x2de8, v50
	v_fma_f16 v77, v46, 0x2de8, -v89
	v_fma_f16 v89, v50, 0xb8d2, -v58
	v_mul_f16_e32 v90, 0xba62, v53
	v_add_f16_e32 v59, v59, v63
	v_add_f16_e32 v48, v61, v48
	v_add_f16_e32 v60, v77, v60
	v_add_f16_e32 v61, v89, v65
	v_fmamk_f16 v63, v46, 0xb8d2, v90
	v_mul_f16_e32 v65, 0xb1e1, v88
	v_fmac_f16_e32 v58, 0xb8d2, v50
	v_fma_f16 v77, v46, 0xb8d2, -v90
	v_mul_f16_e32 v89, 0xb1e1, v53
	v_add_f16_e32 v63, v63, v66
	v_fma_f16 v66, v50, 0xbbdd, -v65
	v_add_f16_e32 v58, v58, v62
	v_add_f16_e32 v62, v77, v64
	v_fmamk_f16 v64, v46, 0xbbdd, v89
	v_mul_f16_e32 v77, 0x3836, v88
	v_add_f16_e32 v66, v66, v69
	v_fmac_f16_e32 v65, 0xbbdd, v50
	v_fma_f16 v69, v46, 0xbbdd, -v89
	v_add_f16_e32 v64, v64, v71
	v_fma_f16 v71, v50, 0xbacd, -v77
	v_mul_f16_e32 v89, 0x3836, v53
	v_add_f16_e32 v65, v65, v67
	v_add_f16_e32 v67, v69, v68
	v_mul_f16_e32 v68, 0x3bb2, v88
	v_add_f16_e32 v69, v71, v72
	v_fmamk_f16 v71, v46, 0xbacd, v89
	v_fmac_f16_e32 v77, 0xbacd, v50
	v_mul_f16_e32 v90, 0x3bb2, v53
	v_fma_f16 v72, v46, 0xbacd, -v89
	v_fma_f16 v89, v50, 0xb461, -v68
	v_add_f16_e32 v71, v71, v76
	v_add_f16_e32 v70, v77, v70
	v_fmamk_f16 v76, v46, 0xb461, v90
	v_mul_f16_e32 v77, 0x3b29, v88
	v_add_f16_e32 v72, v72, v73
	v_add_f16_e32 v73, v89, v81
	v_fmac_f16_e32 v68, 0xb461, v50
	v_mul_f16_e32 v81, 0x3b29, v53
	v_add_f16_e32 v76, v76, v82
	v_fma_f16 v82, v50, 0x3722, -v77
	v_mul_f16_e32 v88, 0x35c8, v88
	v_fmac_f16_e32 v77, 0x3722, v50
	v_add_f16_e32 v68, v68, v75
	v_fmamk_f16 v75, v46, 0x3722, v81
	v_add_f16_e32 v82, v82, v85
	v_fma_f16 v81, v46, 0x3722, -v81
	v_fma_f16 v85, v50, 0x3b76, -v88
	v_add_f16_e32 v77, v77, v83
	v_sub_f16_e32 v83, v74, v45
	v_add_f16_e32 v75, v75, v86
	v_mul_f16_e32 v53, 0x35c8, v53
	v_add_f16_e32 v81, v81, v84
	v_add_f16_e32 v84, v85, v87
	;; [unrolled: 1-line block ×3, first 2 shown]
	v_mul_f16_e32 v87, 0xbb29, v83
	v_sub_f16_e32 v49, v79, v49
	v_fma_f16 v89, v46, 0xb461, -v90
	v_fmamk_f16 v85, v46, 0x3b76, v53
	v_fmac_f16_e32 v88, 0x3b76, v50
	v_fma_f16 v46, v46, 0x3b76, -v53
	v_add_f16_e32 v45, v74, v45
	v_fma_f16 v50, v86, 0x3722, -v87
	v_mul_f16_e32 v53, 0xbb29, v49
	v_add_f16_e32 v74, v85, v78
	v_add_f16_e32 v43, v46, v43
	v_mul_f16_e32 v78, 0xba62, v49
	v_add_f16_e32 v46, v50, v56
	v_fmamk_f16 v50, v45, 0x3722, v53
	v_mul_f16_e32 v56, 0xba62, v83
	v_fma_f16 v53, v45, 0x3722, -v53
	v_mul_f16_e32 v79, 0x31e1, v83
	v_mul_f16_e32 v85, 0x3bb2, v49
	v_add_f16_e32 v50, v50, v51
	v_fma_f16 v51, v86, 0xb8d2, -v56
	v_add_f16_e32 v53, v53, v57
	v_fmamk_f16 v57, v45, 0xb8d2, v78
	v_fmac_f16_e32 v56, 0xb8d2, v86
	v_add_f16_e32 v80, v89, v80
	v_add_f16_e32 v51, v51, v54
	v_fma_f16 v54, v45, 0xb8d2, -v78
	v_add_f16_e32 v57, v57, v59
	v_fma_f16 v59, v86, 0xbbdd, -v79
	v_mul_f16_e32 v78, 0x31e1, v49
	v_add_f16_e32 v48, v56, v48
	v_mul_f16_e32 v56, 0x3bb2, v83
	v_add_f16_e32 v54, v54, v60
	v_add_f16_e32 v59, v59, v61
	v_fmamk_f16 v60, v45, 0xbbdd, v78
	v_fmac_f16_e32 v79, 0xbbdd, v86
	v_fma_f16 v61, v45, 0xbbdd, -v78
	v_fma_f16 v78, v86, 0xb461, -v56
	v_fmac_f16_e32 v56, 0xb461, v86
	v_add_f16_e32 v60, v60, v63
	v_add_f16_e32 v58, v79, v58
	;; [unrolled: 1-line block ×4, first 2 shown]
	v_fmamk_f16 v63, v45, 0xb461, v85
	v_mul_f16_e32 v66, 0x3964, v83
	v_fma_f16 v78, v45, 0xb461, -v85
	v_mul_f16_e32 v79, 0x3964, v49
	v_add_f16_e32 v56, v56, v65
	v_add_f16_e32 v63, v63, v64
	v_fma_f16 v64, v86, 0x39e9, -v66
	v_add_f16_e32 v65, v78, v67
	v_fmamk_f16 v67, v45, 0x39e9, v79
	v_mul_f16_e32 v78, 0xb5c8, v83
	v_fmac_f16_e32 v66, 0x39e9, v86
	v_add_f16_e32 v64, v64, v69
	v_fma_f16 v69, v45, 0x39e9, -v79
	v_add_f16_e32 v67, v67, v71
	v_fma_f16 v71, v86, 0x3b76, -v78
	v_mul_f16_e32 v79, 0xb5c8, v49
	v_add_f16_e32 v66, v66, v70
	v_mul_f16_e32 v70, 0xbbf7, v83
	v_mul_f16_e32 v85, 0xbbf7, v49
	v_add_f16_e32 v71, v71, v73
	v_fma_f16 v73, v45, 0x3b76, -v79
	v_add_f16_e32 v69, v69, v72
	v_fmamk_f16 v72, v45, 0x3b76, v79
	v_fmac_f16_e32 v78, 0x3b76, v86
	v_fma_f16 v79, v86, 0x2de8, -v70
	v_add_f16_e32 v73, v73, v80
	v_fmac_f16_e32 v70, 0x2de8, v86
	v_fma_f16 v80, v45, 0x2de8, -v85
	v_add_f16_e32 v72, v72, v76
	v_add_f16_e32 v68, v78, v68
	;; [unrolled: 1-line block ×3, first 2 shown]
	v_fmamk_f16 v78, v45, 0x2de8, v85
	v_mul_f16_e32 v79, 0xb836, v83
	v_mul_f16_e32 v49, 0xb836, v49
	v_add_f16_e32 v70, v70, v77
	v_add_f16_e32 v77, v80, v81
	v_sub_f16_e32 v80, v41, v44
	v_add_f16_e32 v81, v42, v47
	v_sub_f16_e32 v42, v42, v47
	v_add_f16_e32 v52, v88, v52
	v_add_f16_e32 v75, v78, v75
	v_fma_f16 v78, v86, 0xbacd, -v79
	v_fmamk_f16 v82, v45, 0xbacd, v49
	v_mul_f16_e32 v47, 0xbbf7, v80
	v_fmac_f16_e32 v79, 0xbacd, v86
	v_fma_f16 v45, v45, 0xbacd, -v49
	v_add_f16_e32 v41, v41, v44
	v_mul_f16_e32 v44, 0xbbf7, v42
	v_fmac_f16_e32 v87, 0x3722, v86
	v_fma_f16 v49, v81, 0x2de8, -v47
	v_add_f16_e32 v52, v79, v52
	v_add_f16_e32 v43, v45, v43
	v_mul_f16_e32 v45, 0xb1e1, v80
	v_fmamk_f16 v79, v41, 0x2de8, v44
	v_add_f16_e32 v55, v87, v55
	v_add_f16_e32 v46, v49, v46
	v_fmac_f16_e32 v47, 0x2de8, v81
	v_fma_f16 v44, v41, 0x2de8, -v44
	v_fma_f16 v49, v81, 0xbbdd, -v45
	v_add_f16_e32 v50, v79, v50
	v_mul_f16_e32 v79, 0xb1e1, v42
	v_add_f16_e32 v47, v47, v55
	v_add_f16_e32 v44, v44, v53
	;; [unrolled: 1-line block ×3, first 2 shown]
	v_mul_f16_e32 v51, 0x3bb2, v80
	v_fmamk_f16 v53, v41, 0xbbdd, v79
	v_fmac_f16_e32 v45, 0xbbdd, v81
	v_fma_f16 v55, v41, 0xbbdd, -v79
	v_mul_f16_e32 v79, 0x3bb2, v42
	v_add_f16_e32 v74, v82, v74
	v_fma_f16 v82, v81, 0xb461, -v51
	v_add_f16_e32 v45, v45, v48
	v_add_f16_e32 v48, v55, v54
	v_fmamk_f16 v54, v41, 0xb461, v79
	v_add_f16_e32 v53, v53, v57
	v_add_f16_e32 v55, v82, v59
	v_mul_f16_e32 v57, 0x35c8, v80
	v_fmac_f16_e32 v51, 0xb461, v81
	v_fma_f16 v59, v41, 0xb461, -v79
	v_add_f16_e32 v54, v54, v60
	v_mul_f16_e32 v60, 0x35c8, v42
	v_fma_f16 v79, v81, 0x3b76, -v57
	v_add_f16_e32 v51, v51, v58
	v_add_f16_e32 v58, v59, v61
	v_mul_f16_e32 v59, 0xbb29, v80
	v_fmamk_f16 v61, v41, 0x3b76, v60
	v_add_f16_e32 v62, v79, v62
	v_fmac_f16_e32 v57, 0x3b76, v81
	v_fma_f16 v60, v41, 0x3b76, -v60
	v_fma_f16 v79, v81, 0x3722, -v59
	v_add_f16_e32 v61, v61, v63
	v_mul_f16_e32 v63, 0xbb29, v42
	v_add_f16_e32 v56, v57, v56
	v_add_f16_e32 v57, v60, v65
	;; [unrolled: 1-line block ×3, first 2 shown]
	v_mul_f16_e32 v64, 0xb836, v80
	v_fmamk_f16 v65, v41, 0x3722, v63
	v_fmac_f16_e32 v59, 0x3722, v81
	v_fma_f16 v63, v41, 0x3722, -v63
	v_mul_f16_e32 v79, 0xb836, v42
	v_fma_f16 v82, v81, 0xbacd, -v64
	v_fmac_f16_e32 v64, 0xbacd, v81
	v_add_f16_e32 v59, v59, v66
	v_add_f16_e32 v63, v63, v69
	v_fmamk_f16 v66, v41, 0xbacd, v79
	v_mul_f16_e32 v69, 0x3a62, v80
	v_add_f16_e32 v65, v65, v67
	v_add_f16_e32 v67, v82, v71
	v_fma_f16 v71, v41, 0xbacd, -v79
	v_add_f16_e32 v72, v66, v72
	v_mul_f16_e32 v66, 0x3a62, v42
	v_fma_f16 v79, v81, 0xb8d2, -v69
	v_add_f16_e32 v68, v64, v68
	v_mul_f16_e32 v64, 0x3964, v80
	v_add_f16_e32 v78, v78, v84
	v_add_f16_e32 v71, v71, v73
	v_fmamk_f16 v73, v41, 0xb8d2, v66
	v_add_f16_e32 v76, v79, v76
	v_fmac_f16_e32 v69, 0xb8d2, v81
	v_fma_f16 v66, v41, 0xb8d2, -v66
	v_fma_f16 v79, v81, 0x39e9, -v64
	v_add_f16_e32 v73, v73, v75
	v_mul_f16_e32 v42, 0x3964, v42
	v_add_f16_e32 v69, v69, v70
	v_add_f16_e32 v70, v66, v77
	;; [unrolled: 1-line block ×3, first 2 shown]
	v_sub_f16_e32 v77, v37, v39
	v_sub_f16_e32 v78, v38, v40
	v_fmamk_f16 v66, v41, 0x39e9, v42
	v_fmac_f16_e32 v64, 0x39e9, v81
	v_add_f16_e32 v40, v38, v40
	v_mul_f16_e32 v38, 0xbbb2, v77
	v_fma_f16 v41, v41, 0x39e9, -v42
	v_add_f16_e32 v37, v37, v39
	v_mul_f16_e32 v39, 0xbbb2, v78
	v_add_f16_e32 v42, v66, v74
	v_fma_f16 v66, v40, 0xb461, -v38
	v_add_f16_e32 v74, v64, v52
	v_add_f16_e32 v41, v41, v43
	v_fmamk_f16 v43, v37, 0xb461, v39
	v_mul_f16_e32 v52, 0x3836, v77
	v_fmac_f16_e32 v38, 0xb461, v40
	v_fma_f16 v39, v37, 0xb461, -v39
	v_mul_f16_e32 v64, 0x3836, v78
	v_add_f16_e32 v50, v43, v50
	v_fma_f16 v43, v40, 0xbacd, -v52
	v_add_f16_e32 v47, v38, v47
	v_mul_f16_e32 v38, 0x3964, v77
	v_add_f16_e32 v79, v39, v44
	v_fmamk_f16 v39, v37, 0xbacd, v64
	v_add_f16_e32 v49, v43, v49
	v_fmac_f16_e32 v52, 0xbacd, v40
	v_fma_f16 v43, v37, 0xbacd, -v64
	v_fma_f16 v44, v40, 0x39e9, -v38
	v_mul_f16_e32 v64, 0x3964, v78
	v_add_f16_e32 v53, v39, v53
	v_add_f16_e32 v80, v52, v45
	;; [unrolled: 1-line block ×4, first 2 shown]
	v_fmamk_f16 v39, v37, 0x39e9, v64
	v_mul_f16_e32 v43, 0xbb29, v77
	v_fmac_f16_e32 v38, 0x39e9, v40
	v_fma_f16 v44, v37, 0x39e9, -v64
	v_mul_f16_e32 v45, 0xbb29, v78
	v_add_f16_e32 v82, v39, v54
	v_fma_f16 v39, v40, 0x3722, -v43
	v_add_f16_e32 v51, v38, v51
	v_add_f16_e32 v83, v44, v58
	v_fmamk_f16 v38, v37, 0x3722, v45
	v_mul_f16_e32 v44, 0xb1e1, v77
	v_add_f16_e32 v62, v39, v62
	v_fmac_f16_e32 v43, 0x3722, v40
	v_fma_f16 v39, v37, 0x3722, -v45
	v_add_f16_e32 v61, v38, v61
	v_fma_f16 v38, v40, 0xbbdd, -v44
	v_mul_f16_e32 v45, 0xb1e1, v78
	v_add_f16_e32 v84, v43, v56
	v_mul_f16_e32 v52, 0x3bf7, v78
	v_add_f16_e32 v46, v66, v46
	v_add_f16_e32 v60, v38, v60
	v_fmamk_f16 v38, v37, 0xbbdd, v45
	v_fma_f16 v43, v37, 0xbbdd, -v45
	v_add_f16_e32 v85, v39, v57
	v_mul_f16_e32 v39, 0x3bf7, v77
	v_fmac_f16_e32 v44, 0xbbdd, v40
	v_add_f16_e32 v86, v38, v65
	v_add_f16_e32 v66, v43, v63
	v_fmamk_f16 v38, v37, 0x2de8, v52
	v_mul_f16_e32 v43, 0xb5c8, v77
	v_fma_f16 v45, v40, 0x2de8, -v39
	v_add_f16_e32 v87, v44, v59
	v_mul_f16_e32 v44, 0xb5c8, v78
	v_add_f16_e32 v64, v38, v72
	v_fma_f16 v38, v40, 0x3b76, -v43
	v_add_f16_e32 v65, v45, v67
	v_fmac_f16_e32 v39, 0x2de8, v40
	v_fma_f16 v45, v37, 0x2de8, -v52
	v_fmac_f16_e32 v43, 0x3b76, v40
	v_add_f16_e32 v54, v38, v76
	v_fma_f16 v38, v37, 0x3b76, -v44
	v_sub_f16_e32 v57, v33, v36
	v_add_f16_e32 v58, v39, v68
	v_fmamk_f16 v39, v37, 0x3b76, v44
	v_add_f16_e32 v59, v45, v71
	v_mul_f16_e32 v45, 0xba62, v77
	v_add_f16_e32 v56, v43, v69
	v_add_f16_e32 v43, v38, v70
	v_add_f16_e32 v38, v34, v35
	v_mul_f16_e32 v67, 0xba62, v57
	v_add_f16_e32 v55, v39, v73
	v_fma_f16 v39, v40, 0xb8d2, -v45
	v_mul_f16_e32 v63, 0xba62, v78
	v_sub_f16_e32 v52, v34, v35
	v_add_f16_e32 v36, v33, v36
	v_fma_f16 v33, v38, 0xb8d2, -v67
	v_add_f16_e32 v44, v39, v75
	v_fmamk_f16 v39, v37, 0xb8d2, v63
	v_fmac_f16_e32 v45, 0xb8d2, v40
	v_mul_f16_e32 v40, 0xba62, v52
	v_add_f16_e32 v33, v33, v46
	v_mul_f16_e32 v46, 0x3bb2, v57
	v_fma_f16 v35, v37, 0xb8d2, -v63
	v_add_f16_e32 v37, v39, v42
	v_add_f16_e32 v34, v45, v74
	v_fmamk_f16 v39, v36, 0xb8d2, v40
	v_fmac_f16_e32 v67, 0xb8d2, v38
	v_mul_f16_e32 v42, 0x3bb2, v52
	v_fma_f16 v45, v38, 0xb461, -v46
	v_add_f16_e32 v35, v35, v41
	v_add_f16_e32 v41, v39, v50
	;; [unrolled: 1-line block ×3, first 2 shown]
	v_fmamk_f16 v47, v36, 0xb461, v42
	v_mul_f16_e32 v50, 0xb5c8, v57
	v_add_f16_e32 v45, v45, v49
	v_fma_f16 v49, v36, 0xb461, -v42
	v_mul_f16_e32 v63, 0xb5c8, v52
	v_mul_f16_e32 v67, 0xb836, v57
	v_add_f16_e32 v42, v47, v53
	v_fma_f16 v53, v38, 0x3b76, -v50
	v_add_f16_e32 v47, v49, v48
	v_fmamk_f16 v48, v36, 0x3b76, v63
	v_fmac_f16_e32 v50, 0x3b76, v38
	v_fma_f16 v63, v36, 0x3b76, -v63
	v_fma_f16 v68, v38, 0xbacd, -v67
	v_mul_f16_e32 v69, 0xb836, v52
	v_add_f16_e32 v49, v53, v81
	v_add_f16_e32 v50, v50, v51
	;; [unrolled: 1-line block ×3, first 2 shown]
	v_mul_lo_u32 v63, v29, v30
	v_add_f16_e32 v53, v48, v82
	v_add_f16_e32 v48, v68, v62
	v_fmamk_f16 v62, v36, 0xbacd, v69
	v_fmac_f16_e32 v67, 0xbacd, v38
	v_mul_f16_e32 v71, 0x3bf7, v57
	v_add_nc_u32_e32 v68, 17, v30
	v_fma_f16 v40, v36, 0xb8d2, -v40
	v_add_f16_e32 v72, v62, v61
	v_add_f16_e32 v73, v67, v84
	v_fma_f16 v62, v38, 0x2de8, -v71
	v_mul_lo_u32 v67, v29, v68
	v_and_b32_e32 v68, 0xff, v63
	v_fma_f16 v61, v36, 0xbacd, -v69
	v_lshrrev_b32_e32 v63, 6, v63
	v_add_f16_e32 v75, v62, v60
	v_fmac_f16_e32 v46, 0xb461, v38
	v_lshlrev_b32_e32 v60, 2, v68
	v_add_f16_e32 v74, v61, v85
	v_and_b32_e32 v61, 0x3fc, v63
	v_and_b32_e32 v62, 0xff, v67
	v_lshrrev_b32_e32 v63, 6, v67
	v_add_nc_u32_e32 v67, 34, v30
	s_clause 0x1
	global_load_b32 v60, v60, s[8:9]
	global_load_b32 v61, v61, s[8:9] offset:1024
	v_add_nc_u32_e32 v68, 51, v30
	v_lshlrev_b32_e32 v62, 2, v62
	v_and_b32_e32 v63, 0x3fc, v63
	v_mul_lo_u32 v67, v29, v67
	s_clause 0x1
	global_load_b32 v62, v62, s[8:9]
	global_load_b32 v63, v63, s[8:9] offset:1024
	v_mul_lo_u32 v68, v29, v68
	v_add_f16_e32 v40, v40, v79
	v_add_nc_u32_e32 v79, 0x44, v30
	v_add_nc_u32_e32 v82, 0x55, v30
	v_and_b32_e32 v69, 0xff, v67
	v_lshrrev_b32_e32 v67, 6, v67
	v_add_f16_e32 v46, v46, v80
	v_mul_lo_u32 v79, v29, v79
	v_and_b32_e32 v70, 0xff, v68
	v_lshrrev_b32_e32 v68, 6, v68
	v_lshlrev_b32_e32 v69, 2, v69
	v_and_b32_e32 v67, 0x3fc, v67
	v_mul_f16_e32 v76, 0x3bf7, v52
	v_lshlrev_b32_e32 v80, 2, v70
	v_and_b32_e32 v81, 0x3fc, v68
	s_clause 0x3
	global_load_b32 v68, v69, s[8:9]
	global_load_b32 v70, v67, s[8:9] offset:1024
	global_load_b32 v67, v80, s[8:9]
	global_load_b32 v69, v81, s[8:9] offset:1024
	v_mul_lo_u32 v80, v29, v82
	v_fmamk_f16 v77, v36, 0x2de8, v76
	v_and_b32_e32 v81, 0xff, v79
	v_lshrrev_b32_e32 v79, 6, v79
	v_add_nc_u32_e32 v85, 0x66, v30
	v_fma_f16 v76, v36, 0x2de8, -v76
	v_add_f16_e32 v77, v77, v86
	v_add_nc_u32_e32 v86, 0x77, v30
	v_and_b32_e32 v84, 0xff, v80
	v_lshrrev_b32_e32 v80, 6, v80
	v_lshlrev_b32_e32 v81, 2, v81
	v_and_b32_e32 v79, 0x3fc, v79
	v_mul_lo_u32 v85, v29, v85
	v_lshlrev_b32_e32 v84, 2, v84
	v_and_b32_e32 v80, 0x3fc, v80
	v_mul_lo_u32 v86, v29, v86
	s_clause 0x1
	global_load_b32 v81, v81, s[8:9]
	global_load_b32 v79, v79, s[8:9] offset:1024
	v_add_f16_e32 v66, v76, v66
	s_clause 0x1
	global_load_b32 v76, v84, s[8:9]
	global_load_b32 v80, v80, s[8:9] offset:1024
	v_fmac_f16_e32 v71, 0x2de8, v38
	v_mul_f16_e32 v78, 0xb964, v57
	v_and_b32_e32 v84, 0xff, v85
	v_lshrrev_b32_e32 v85, 6, v85
	v_mul_f16_e32 v83, 0xb964, v52
	v_add_f16_e32 v71, v71, v87
	v_fma_f16 v82, v38, 0x39e9, -v78
	v_and_b32_e32 v87, 0xff, v86
	v_add_nc_u32_e32 v88, 0x88, v30
	v_lshrrev_b32_e32 v86, 6, v86
	v_lshlrev_b32_e32 v84, 2, v84
	v_and_b32_e32 v85, 0x3fc, v85
	v_add_f16_e32 v65, v82, v65
	v_fmamk_f16 v82, v36, 0x39e9, v83
	v_lshlrev_b32_e32 v87, 2, v87
	v_mul_lo_u32 v88, v29, v88
	v_and_b32_e32 v86, 0x3fc, v86
	s_clause 0x1
	global_load_b32 v84, v84, s[8:9]
	global_load_b32 v85, v85, s[8:9] offset:1024
	v_add_f16_e32 v64, v82, v64
	s_clause 0x1
	global_load_b32 v82, v87, s[8:9]
	global_load_b32 v86, v86, s[8:9] offset:1024
	v_add_nc_u32_e32 v87, 0x99, v30
	v_add_nc_u32_e32 v90, 0xaa, v30
	v_and_b32_e32 v89, 0xff, v88
	v_lshrrev_b32_e32 v88, 6, v88
	v_fmac_f16_e32 v78, 0x39e9, v38
	v_mul_lo_u32 v87, v29, v87
	v_mul_lo_u32 v90, v29, v90
	v_fma_f16 v83, v36, 0x39e9, -v83
	v_lshlrev_b32_e32 v89, 2, v89
	v_and_b32_e32 v88, 0x3fc, v88
	v_add_f16_e32 v58, v78, v58
	v_mul_f16_e32 v94, 0xb1e1, v52
	v_add_f16_e32 v59, v83, v59
	s_clause 0x1
	global_load_b32 v78, v89, s[8:9]
	global_load_b32 v83, v88, s[8:9] offset:1024
	v_and_b32_e32 v88, 0xff, v87
	v_and_b32_e32 v91, 0xff, v90
	v_lshrrev_b32_e32 v87, 6, v87
	v_lshrrev_b32_e32 v90, 6, v90
	v_mul_f16_e32 v89, 0xb1e1, v57
	v_lshlrev_b32_e32 v88, 2, v88
	v_lshlrev_b32_e32 v91, 2, v91
	v_and_b32_e32 v87, 0x3fc, v87
	v_and_b32_e32 v90, 0x3fc, v90
	s_clause 0x3
	global_load_b32 v88, v88, s[8:9]
	global_load_b32 v87, v87, s[8:9] offset:1024
	global_load_b32 v91, v91, s[8:9]
	global_load_b32 v90, v90, s[8:9] offset:1024
	v_fma_f16 v96, v38, 0xbbdd, -v89
	v_fmac_f16_e32 v89, 0xbbdd, v38
	s_clause 0x1
	global_load_b32 v95, v95, s[8:9]
	global_load_b32 v92, v92, s[8:9] offset:1024
	v_fmamk_f16 v97, v36, 0xbbdd, v94
	v_mul_f16_e32 v57, 0x3b29, v57
	v_add_f16_e32 v54, v96, v54
	s_clause 0x1
	global_load_b32 v96, v98, s[8:9]
	global_load_b32 v93, v93, s[8:9] offset:1024
	v_add_f16_e32 v56, v89, v56
	v_and_b32_e32 v89, 0xff, v99
	v_add_f16_e32 v55, v97, v55
	v_lshrrev_b32_e32 v97, 6, v99
	v_and_b32_e32 v98, 0xff, v100
	v_lshrrev_b32_e32 v99, 6, v100
	v_lshlrev_b32_e32 v89, 2, v89
	v_add_nc_u32_e32 v100, 0xff, v30
	v_and_b32_e32 v97, 0x3fc, v97
	v_add_nc_u32_e32 v30, 0x110, v30
	s_clause 0x1
	global_load_b32 v89, v89, s[8:9]
	global_load_b32 v97, v97, s[8:9] offset:1024
	v_mul_lo_u32 v100, v29, v100
	v_mul_lo_u32 v29, v29, v30
	v_fma_f16 v94, v36, 0xbbdd, -v94
	v_fma_f16 v101, v38, 0x3722, -v57
	v_lshlrev_b32_e32 v98, 2, v98
	v_and_b32_e32 v99, 0x3fc, v99
	s_clause 0x1
	global_load_b32 v30, v98, s[8:9]
	global_load_b32 v98, v99, s[8:9] offset:1024
	v_add_f16_e32 v43, v94, v43
	v_add_f16_e32 v44, v101, v44
	v_and_b32_e32 v94, 0xff, v100
	v_and_b32_e32 v101, 0xff, v29
	v_lshrrev_b32_e32 v99, 6, v100
	v_lshrrev_b32_e32 v29, 6, v29
	v_fmac_f16_e32 v57, 0x3722, v38
	v_lshlrev_b32_e32 v94, 2, v94
	v_lshlrev_b32_e32 v38, 2, v101
	v_and_b32_e32 v99, 0x3fc, v99
	v_and_b32_e32 v29, 0x3fc, v29
	s_clause 0x3
	global_load_b32 v94, v94, s[8:9]
	global_load_b32 v99, v99, s[8:9] offset:1024
	global_load_b32 v38, v38, s[8:9]
	global_load_b32 v29, v29, s[8:9] offset:1024
	v_mul_f16_e32 v52, 0x3b29, v52
	v_sub_f16_e32 v101, v6, v31
	v_sub_f16_e32 v102, v7, v32
	v_add_f16_e32 v7, v7, v32
	v_add_f16_e32 v6, v6, v31
	v_fmamk_f16 v100, v36, 0x3722, v52
	v_mul_f16_e32 v32, 0xb836, v101
	v_fma_f16 v36, v36, 0x3722, -v52
	v_mul_f16_e32 v31, 0xb836, v102
	v_add_f16_e32 v34, v57, v34
	v_mul_f16_e32 v57, 0x3b29, v101
	v_fma_f16 v52, v7, 0xbacd, -v32
	v_add_f16_e32 v35, v36, v35
	v_fmamk_f16 v36, v6, 0xbacd, v31
	v_fmac_f16_e32 v32, 0xbacd, v7
	v_fma_f16 v31, v6, 0xbacd, -v31
	v_add_f16_e32 v33, v52, v33
	v_mul_f16_e32 v52, 0x3b29, v102
	v_add_f16_e32 v36, v36, v41
	v_fma_f16 v41, v7, 0x3722, -v57
	v_add_f16_e32 v32, v32, v39
	v_mul_f16_e32 v39, 0xbbf7, v101
	v_add_f16_e32 v37, v100, v37
	v_add_f16_e32 v31, v31, v40
	;; [unrolled: 1-line block ×3, first 2 shown]
	v_fmamk_f16 v41, v6, 0x3722, v52
	v_fmac_f16_e32 v57, 0x3722, v7
	v_fma_f16 v45, v6, 0x3722, -v52
	v_fma_f16 v52, v7, 0x2de8, -v39
	v_mul_f16_e32 v100, 0xbbf7, v102
	v_add_f16_e32 v41, v41, v42
	v_add_f16_e32 v42, v57, v46
	;; [unrolled: 1-line block ×4, first 2 shown]
	v_fmamk_f16 v47, v6, 0x2de8, v100
	v_mul_f16_e32 v49, 0x3a62, v101
	v_fmac_f16_e32 v39, 0x2de8, v7
	v_fma_f16 v52, v6, 0x2de8, -v100
	v_mul_f16_e32 v57, 0x3a62, v102
	v_add_f16_e32 v47, v47, v53
	v_fma_f16 v53, v7, 0xb8d2, -v49
	v_add_f16_e32 v39, v39, v50
	v_add_f16_e32 v50, v52, v51
	v_fmamk_f16 v51, v6, 0xb8d2, v57
	v_mul_f16_e32 v52, 0xb5c8, v101
	v_fmac_f16_e32 v49, 0xb8d2, v7
	v_add_f16_e32 v48, v53, v48
	v_fma_f16 v53, v6, 0xb8d2, -v57
	v_add_f16_e32 v51, v51, v72
	v_fma_f16 v57, v7, 0x3b76, -v52
	v_mul_f16_e32 v72, 0xb5c8, v102
	v_add_f16_e32 v49, v49, v73
	v_mul_f16_e32 v73, 0xb1e1, v101
	v_add_f16_e32 v53, v53, v74
	v_add_f16_e32 v57, v57, v75
	v_fmamk_f16 v74, v6, 0x3b76, v72
	v_fmac_f16_e32 v52, 0x3b76, v7
	v_fma_f16 v72, v6, 0x3b76, -v72
	v_fma_f16 v75, v7, 0xbbdd, -v73
	v_mul_f16_e32 v100, 0xb1e1, v102
	v_add_f16_e32 v74, v74, v77
	v_add_f16_e32 v52, v52, v71
	;; [unrolled: 1-line block ×4, first 2 shown]
	v_fmamk_f16 v71, v6, 0xbbdd, v100
	v_mul_f16_e32 v72, 0x3964, v101
	v_fmac_f16_e32 v73, 0xbbdd, v7
	v_fma_f16 v75, v6, 0xbbdd, -v100
	v_mul_f16_e32 v77, 0x3964, v102
	v_add_f16_e32 v64, v71, v64
	v_fma_f16 v71, v7, 0x39e9, -v72
	v_add_f16_e32 v58, v73, v58
	v_add_f16_e32 v59, v75, v59
	v_fmamk_f16 v73, v6, 0x39e9, v77
	v_mul_f16_e32 v75, 0xbbb2, v101
	v_add_f16_e32 v54, v71, v54
	v_fma_f16 v71, v6, 0x39e9, -v77
	v_fmac_f16_e32 v72, 0x39e9, v7
	v_add_f16_e32 v55, v73, v55
	v_fma_f16 v73, v7, 0xb461, -v75
	v_mul_f16_e32 v77, 0xbbb2, v102
	v_add_f16_e32 v43, v71, v43
	v_sub_f16_e32 v71, v0, v4
	v_add_f16_e32 v56, v72, v56
	v_add_f16_e32 v44, v73, v44
	;; [unrolled: 1-line block ×3, first 2 shown]
	v_sub_f16_e32 v1, v1, v5
	v_fmamk_f16 v72, v6, 0xb461, v77
	v_mul_f16_e32 v5, 0xb1e1, v71
	v_fma_f16 v6, v6, 0xb461, -v77
	v_add_f16_e32 v0, v0, v4
	v_mul_f16_e32 v4, 0xb1e1, v1
	v_fmac_f16_e32 v75, 0xb461, v7
	v_fma_f16 v7, v73, 0xbbdd, -v5
	v_add_f16_e32 v6, v6, v35
	v_fmac_f16_e32 v5, 0xbbdd, v73
	v_fmamk_f16 v35, v0, 0xbbdd, v4
	v_fma_f16 v4, v0, 0xbbdd, -v4
	v_add_f16_e32 v7, v7, v33
	v_mul_f16_e32 v33, 0x35c8, v71
	v_add_f16_e32 v37, v72, v37
	v_add_f16_e32 v35, v35, v36
	v_mul_f16_e32 v36, 0x35c8, v1
	v_add_f16_e32 v5, v5, v32
	v_fma_f16 v72, v73, 0x3b76, -v33
	v_add_f16_e32 v4, v4, v31
	v_mul_f16_e32 v31, 0xb836, v71
	v_fmamk_f16 v32, v0, 0x3b76, v36
	v_fmac_f16_e32 v33, 0x3b76, v73
	v_add_f16_e32 v40, v72, v40
	v_fma_f16 v36, v0, 0x3b76, -v36
	v_fma_f16 v72, v73, 0xbacd, -v31
	v_add_f16_e32 v32, v32, v41
	v_mul_f16_e32 v41, 0xb836, v1
	v_add_f16_e32 v33, v33, v42
	v_add_f16_e32 v36, v36, v45
	;; [unrolled: 1-line block ×3, first 2 shown]
	v_mul_f16_e32 v45, 0x3964, v71
	v_fmamk_f16 v46, v0, 0xbacd, v41
	v_fmac_f16_e32 v31, 0xbacd, v73
	v_fma_f16 v41, v0, 0xbacd, -v41
	v_mul_f16_e32 v72, 0x3964, v1
	v_add_f16_e32 v34, v75, v34
	v_fma_f16 v75, v73, 0x39e9, -v45
	v_add_f16_e32 v31, v31, v39
	v_add_f16_e32 v39, v41, v50
	v_fmamk_f16 v41, v0, 0x39e9, v72
	v_add_f16_e32 v46, v46, v47
	v_add_f16_e32 v47, v75, v48
	v_mul_f16_e32 v48, 0xba62, v71
	v_fmac_f16_e32 v45, 0x39e9, v73
	v_fma_f16 v50, v0, 0x39e9, -v72
	v_add_f16_e32 v41, v41, v51
	v_mul_f16_e32 v51, 0xba62, v1
	v_fma_f16 v72, v73, 0xb8d2, -v48
	v_add_f16_e32 v45, v45, v49
	v_add_f16_e32 v49, v50, v53
	v_mul_f16_e32 v50, 0x3b29, v71
	v_fmamk_f16 v53, v0, 0xb8d2, v51
	v_add_f16_e32 v57, v72, v57
	v_fmac_f16_e32 v48, 0xb8d2, v73
	v_fma_f16 v51, v0, 0xb8d2, -v51
	v_fma_f16 v72, v73, 0x3722, -v50
	v_add_f16_e32 v53, v53, v74
	v_mul_f16_e32 v74, 0x3b29, v1
	v_add_f16_e32 v48, v48, v52
	v_add_f16_e32 v51, v51, v66
	;; [unrolled: 1-line block ×3, first 2 shown]
	v_mul_f16_e32 v65, 0xbbb2, v71
	v_fmamk_f16 v66, v0, 0x3722, v74
	v_fmac_f16_e32 v50, 0x3722, v73
	v_fma_f16 v72, v0, 0x3722, -v74
	v_mul_f16_e32 v74, 0xbbb2, v1
	v_fma_f16 v75, v73, 0xb461, -v65
	v_add_f16_e32 v64, v66, v64
	v_add_f16_e32 v50, v50, v58
	;; [unrolled: 1-line block ×3, first 2 shown]
	v_fmamk_f16 v59, v0, 0xb461, v74
	v_fmac_f16_e32 v65, 0xb461, v73
	v_mul_f16_e32 v66, 0x3bf7, v71
	v_fma_f16 v71, v0, 0xb461, -v74
	v_mul_f16_e32 v1, 0x3bf7, v1
	v_add_f16_e32 v55, v59, v55
	v_add_f16_e32 v56, v65, v56
	v_fma_f16 v59, v73, 0x2de8, -v66
	v_fmac_f16_e32 v66, 0x2de8, v73
	v_add_f16_e32 v43, v71, v43
	v_fmamk_f16 v71, v0, 0x2de8, v1
	v_fma_f16 v0, v0, 0x2de8, -v1
	v_add_f16_e32 v44, v59, v44
	v_add_f16_e32 v34, v66, v34
	v_add_f16_e32 v54, v75, v54
	v_add_f16_e32 v37, v71, v37
	v_add_f16_e32 v0, v0, v6
	global_wb scope:SCOPE_SE
	s_wait_loadcnt 0x0
	s_barrier_signal -1
	s_barrier_wait -1
	global_inv scope:SCOPE_SE
	v_lshrrev_b32_e32 v59, 16, v60
	v_lshrrev_b32_e32 v65, 16, v61
	s_delay_alu instid0(VALU_DEP_1) | instskip(NEXT) | instid1(VALU_DEP_3)
	v_mul_f16_e32 v72, v60, v65
	v_mul_f16_e32 v65, v59, v65
	v_lshrrev_b32_e32 v66, 16, v63
	s_delay_alu instid0(VALU_DEP_3) | instskip(SKIP_1) | instid1(VALU_DEP_4)
	v_fmac_f16_e32 v72, v59, v61
	v_lshrrev_b32_e32 v59, 16, v62
	v_fma_f16 v60, v60, v61, -v65
	s_delay_alu instid0(VALU_DEP_4) | instskip(NEXT) | instid1(VALU_DEP_4)
	v_mul_f16_e32 v1, v62, v66
	v_mul_f16_e32 v61, v2, v72
	s_delay_alu instid0(VALU_DEP_4) | instskip(SKIP_1) | instid1(VALU_DEP_4)
	v_mul_f16_e32 v65, v59, v66
	v_mul_f16_e32 v6, v3, v72
	v_fmac_f16_e32 v1, v59, v63
	s_delay_alu instid0(VALU_DEP_4) | instskip(NEXT) | instid1(VALU_DEP_4)
	v_fma_f16 v3, v3, v60, -v61
	v_fma_f16 v59, v62, v63, -v65
	v_lshrrev_b32_e32 v61, 16, v70
	v_fmac_f16_e32 v6, v2, v60
	v_lshrrev_b32_e32 v2, 16, v69
	v_lshrrev_b32_e32 v60, 16, v68
	v_mul_f16_e32 v62, v1, v35
	v_mul_f16_e32 v63, v68, v61
	v_lshrrev_b32_e32 v65, 16, v67
	v_mul_f16_e32 v66, v67, v2
	v_mul_f16_e32 v61, v60, v61
	v_fma_f16 v62, v59, v7, -v62
	v_fmac_f16_e32 v63, v60, v70
	v_mul_f16_e32 v1, v1, v7
	v_mul_f16_e32 v2, v65, v2
	v_fmac_f16_e32 v66, v65, v69
	v_fma_f16 v7, v68, v70, -v61
	v_mul_f16_e32 v60, v32, v63
	v_mul_f16_e32 v61, v40, v63
	v_fma_f16 v2, v67, v69, -v2
	v_mul_f16_e32 v63, v46, v66
	v_fmac_f16_e32 v1, v59, v35
	v_fma_f16 v35, v40, v7, -v60
	v_lshrrev_b32_e32 v40, 16, v79
	v_lshrrev_b32_e32 v59, 16, v80
	v_fmac_f16_e32 v61, v32, v7
	v_fma_f16 v7, v42, v2, -v63
	v_lshrrev_b32_e32 v32, 16, v81
	v_mul_f16_e32 v60, v81, v40
	v_mul_f16_e32 v42, v42, v66
	v_lshrrev_b32_e32 v63, 16, v76
	v_mul_f16_e32 v65, v76, v59
	v_mul_f16_e32 v40, v32, v40
	v_fmac_f16_e32 v60, v32, v79
	v_fmac_f16_e32 v42, v46, v2
	v_mul_f16_e32 v2, v63, v59
	v_fmac_f16_e32 v65, v63, v80
	v_fma_f16 v32, v81, v79, -v40
	v_mul_f16_e32 v40, v41, v60
	v_mul_f16_e32 v46, v47, v60
	v_fma_f16 v2, v76, v80, -v2
	v_lshrrev_b32_e32 v59, 16, v85
	v_mul_f16_e32 v60, v53, v65
	v_fma_f16 v40, v47, v32, -v40
	v_fmac_f16_e32 v46, v41, v32
	v_lshrrev_b32_e32 v32, 16, v84
	v_mul_f16_e32 v41, v84, v59
	v_fma_f16 v47, v57, v2, -v60
	v_mul_f16_e32 v57, v57, v65
	v_lshrrev_b32_e32 v60, 16, v86
	v_mul_f16_e32 v59, v32, v59
	v_fmac_f16_e32 v41, v32, v85
	v_lshrrev_b32_e32 v32, 16, v82
	v_fmac_f16_e32 v57, v53, v2
	v_mul_f16_e32 v2, v82, v60
	v_fma_f16 v53, v84, v85, -v59
	v_mul_f16_e32 v59, v64, v41
	v_mul_f16_e32 v60, v32, v60
	v_lshrrev_b32_e32 v63, 16, v83
	v_fmac_f16_e32 v2, v32, v86
	v_mul_f16_e32 v32, v52, v41
	v_lshrrev_b32_e32 v41, 16, v78
	v_fma_f16 v60, v82, v86, -v60
	v_mul_f16_e32 v65, v78, v63
	v_mul_f16_e32 v66, v55, v2
	;; [unrolled: 1-line block ×3, first 2 shown]
	v_fma_f16 v52, v52, v53, -v59
	v_mul_f16_e32 v59, v41, v63
	v_fmac_f16_e32 v65, v41, v83
	v_fma_f16 v41, v54, v60, -v66
	v_lshrrev_b32_e32 v54, 16, v87
	v_fmac_f16_e32 v2, v55, v60
	v_lshrrev_b32_e32 v55, 16, v90
	v_fmac_f16_e32 v32, v64, v53
	v_fma_f16 v53, v78, v83, -v59
	v_mul_f16_e32 v59, v37, v65
	v_lshrrev_b32_e32 v63, 16, v88
	v_mul_f16_e32 v60, v88, v54
	v_lshrrev_b32_e32 v64, 16, v91
	v_mul_f16_e32 v66, v91, v55
	v_fma_f16 v59, v44, v53, -v59
	v_mul_f16_e32 v54, v63, v54
	v_fmac_f16_e32 v60, v63, v87
	v_mul_f16_e32 v44, v44, v65
	v_mul_f16_e32 v55, v64, v55
	v_fmac_f16_e32 v66, v64, v90
	v_fma_f16 v54, v88, v87, -v54
	v_mul_f16_e32 v63, v0, v60
	v_fmac_f16_e32 v44, v37, v53
	v_mul_f16_e32 v37, v34, v60
	v_fma_f16 v53, v91, v90, -v55
	v_mul_f16_e32 v55, v43, v66
	v_lshrrev_b32_e32 v60, 16, v92
	v_fma_f16 v34, v34, v54, -v63
	v_fmac_f16_e32 v37, v0, v54
	v_lshrrev_b32_e32 v0, 16, v95
	v_fma_f16 v54, v56, v53, -v55
	v_lshrrev_b32_e32 v55, 16, v93
	v_mul_f16_e32 v63, v95, v60
	v_mul_f16_e32 v56, v56, v66
	v_mul_f16_e32 v60, v0, v60
	v_lshrrev_b32_e32 v64, 16, v96
	v_mul_f16_e32 v65, v96, v55
	v_fmac_f16_e32 v63, v0, v92
	v_fmac_f16_e32 v56, v43, v53
	v_fma_f16 v0, v95, v92, -v60
	v_mul_f16_e32 v43, v64, v55
	v_fmac_f16_e32 v65, v64, v93
	v_mul_f16_e32 v53, v58, v63
	v_lshrrev_b32_e32 v60, 16, v97
	v_mul_f16_e32 v55, v50, v63
	v_fma_f16 v43, v96, v93, -v43
	v_mul_f16_e32 v63, v51, v65
	v_fma_f16 v50, v50, v0, -v53
	v_lshrrev_b32_e32 v53, 16, v89
	v_mul_f16_e32 v64, v89, v60
	v_fmac_f16_e32 v55, v58, v0
	v_fma_f16 v0, v48, v43, -v63
	v_mul_f16_e32 v48, v48, v65
	v_mul_f16_e32 v60, v53, v60
	v_fmac_f16_e32 v64, v53, v97
	v_lshrrev_b32_e32 v58, 16, v98
	v_lshrrev_b32_e32 v53, 16, v30
	v_fmac_f16_e32 v48, v51, v43
	v_fma_f16 v60, v89, v97, -v60
	v_mul_f16_e32 v43, v45, v64
	v_mul_f16_e32 v65, v49, v64
	;; [unrolled: 1-line block ×4, first 2 shown]
	v_lshrrev_b32_e32 v51, 16, v99
	v_fmac_f16_e32 v43, v49, v60
	v_lshrrev_b32_e32 v49, 16, v29
	v_fma_f16 v45, v45, v60, -v65
	v_lshrrev_b32_e32 v64, 16, v38
	v_fmac_f16_e32 v63, v53, v98
	v_fma_f16 v30, v30, v98, -v58
	v_mul_f16_e32 v65, v38, v49
	v_lshrrev_b32_e32 v58, 16, v94
	v_mul_f16_e32 v60, v94, v51
	v_mul_f16_e32 v49, v64, v49
	;; [unrolled: 1-line block ×3, first 2 shown]
	v_fmac_f16_e32 v65, v64, v29
	v_mul_f16_e32 v51, v58, v51
	v_fmac_f16_e32 v60, v58, v99
	v_fma_f16 v29, v38, v29, -v49
	v_fma_f16 v53, v31, v30, -v53
	v_mul_f16_e32 v49, v5, v65
	v_mul_f16_e32 v38, v4, v65
	;; [unrolled: 1-line block ×3, first 2 shown]
	v_fma_f16 v51, v94, v99, -v51
	v_mul_f16_e32 v58, v36, v60
	v_mul_f16_e32 v60, v33, v60
	v_pack_b32_f16 v3, v3, v6
	v_pack_b32_f16 v1, v62, v1
	v_fmac_f16_e32 v49, v4, v29
	v_pack_b32_f16 v4, v35, v61
	v_pack_b32_f16 v6, v7, v42
	v_fma_f16 v5, v5, v29, -v38
	v_pack_b32_f16 v7, v40, v46
	v_pack_b32_f16 v29, v47, v57
	v_fmac_f16_e32 v31, v39, v30
	v_fma_f16 v30, v33, v51, -v58
	v_fmac_f16_e32 v60, v36, v51
	v_pack_b32_f16 v32, v52, v32
	v_pack_b32_f16 v2, v41, v2
	ds_store_2addr_b32 v28, v3, v1 offset1:17
	ds_store_2addr_b32 v28, v4, v6 offset0:34 offset1:51
	ds_store_2addr_b32 v28, v7, v29 offset0:68 offset1:85
	;; [unrolled: 1-line block ×3, first 2 shown]
	v_pack_b32_f16 v1, v59, v44
	v_pack_b32_f16 v2, v34, v37
	;; [unrolled: 1-line block ×9, first 2 shown]
	ds_store_2addr_b32 v28, v1, v2 offset0:136 offset1:153
	ds_store_2addr_b32 v28, v3, v4 offset0:170 offset1:187
	;; [unrolled: 1-line block ×4, first 2 shown]
	ds_store_b32 v28, v5 offset:1088
	global_wb scope:SCOPE_SE
	s_wait_dscnt 0x0
	s_barrier_signal -1
	s_barrier_wait -1
	global_inv scope:SCOPE_SE
	s_and_saveexec_b32 s8, s12
	s_cbranch_execz .LBB0_16
; %bb.15:
	v_mad_co_u64_u32 v[0:1], null, s6, v26, 0
	v_mad_co_u64_u32 v[2:3], null, s4, v24, 0
	v_add3_u32 v31, 0, v27, v25
	s_lshl_b64 s[2:3], s[2:3], 2
	v_mad_co_u64_u32 v[27:28], null, s4, v21, 0
	s_wait_alu 0xfffe
	s_add_nc_u64 s[0:1], s[0:1], s[2:3]
	ds_load_2addr_b32 v[29:30], v31 offset1:17
	v_mad_co_u64_u32 v[4:5], null, s7, v26, v[1:2]
	v_mad_co_u64_u32 v[5:6], null, s4, v23, 0
	s_delay_alu instid0(VALU_DEP_2) | instskip(NEXT) | instid1(VALU_DEP_2)
	v_mad_co_u64_u32 v[24:25], null, s5, v24, v[3:4]
	v_dual_mov_b32 v1, v4 :: v_dual_mov_b32 v4, v6
	v_mad_co_u64_u32 v[25:26], null, s4, v22, 0
	s_delay_alu instid0(VALU_DEP_2) | instskip(NEXT) | instid1(VALU_DEP_4)
	v_lshlrev_b64_e32 v[0:1], 2, v[0:1]
	v_mov_b32_e32 v3, v24
	s_delay_alu instid0(VALU_DEP_4) | instskip(NEXT) | instid1(VALU_DEP_4)
	v_mad_co_u64_u32 v[23:24], null, s5, v23, v[4:5]
	v_mov_b32_e32 v6, v26
	s_delay_alu instid0(VALU_DEP_3) | instskip(SKIP_4) | instid1(VALU_DEP_3)
	v_lshlrev_b64_e32 v[2:3], 2, v[2:3]
	v_add_co_u32 v32, vcc_lo, s0, v0
	s_wait_alu 0xfffd
	v_add_co_ci_u32_e32 v33, vcc_lo, s1, v1, vcc_lo
	v_mad_co_u64_u32 v[0:1], null, s5, v22, v[6:7]
	v_add_co_u32 v1, vcc_lo, v32, v2
	s_wait_alu 0xfffd
	s_delay_alu instid0(VALU_DEP_3)
	v_add_co_ci_u32_e32 v2, vcc_lo, v33, v3, vcc_lo
	ds_load_2addr_b32 v[3:4], v31 offset0:34 offset1:51
	v_mov_b32_e32 v6, v23
	v_mov_b32_e32 v26, v0
	s_wait_dscnt 0x1
	global_store_b32 v[1:2], v29, off
	v_mov_b32_e32 v0, v28
	v_lshlrev_b64_e32 v[1:2], 2, v[5:6]
	v_mad_co_u64_u32 v[5:6], null, s4, v20, 0
	v_lshlrev_b64_e32 v[22:23], 2, v[25:26]
	s_delay_alu instid0(VALU_DEP_3)
	v_mad_co_u64_u32 v[24:25], null, s5, v21, v[0:1]
	v_add_co_u32 v0, vcc_lo, v32, v1
	s_wait_alu 0xfffd
	v_add_co_ci_u32_e32 v1, vcc_lo, v33, v2, vcc_lo
	v_mov_b32_e32 v2, v6
	v_add_co_u32 v6, vcc_lo, v32, v22
	s_wait_alu 0xfffd
	v_add_co_ci_u32_e32 v7, vcc_lo, v33, v23, vcc_lo
	s_wait_dscnt 0x0
	v_mad_co_u64_u32 v[20:21], null, s5, v20, v[2:3]
	v_mad_co_u64_u32 v[21:22], null, s4, v19, 0
	v_mov_b32_e32 v28, v24
	s_clause 0x1
	global_store_b32 v[0:1], v30, off
	global_store_b32 v[6:7], v3, off
	v_mad_co_u64_u32 v[23:24], null, s4, v18, 0
	ds_load_2addr_b32 v[2:3], v31 offset0:68 offset1:85
	v_dual_mov_b32 v6, v20 :: v_dual_mov_b32 v7, v22
	v_lshlrev_b64_e32 v[0:1], 2, v[27:28]
	s_delay_alu instid0(VALU_DEP_2) | instskip(NEXT) | instid1(VALU_DEP_3)
	v_lshlrev_b64_e32 v[5:6], 2, v[5:6]
	v_mad_co_u64_u32 v[19:20], null, s5, v19, v[7:8]
	v_mov_b32_e32 v7, v24
	s_delay_alu instid0(VALU_DEP_4)
	v_add_co_u32 v0, vcc_lo, v32, v0
	s_wait_alu 0xfffd
	v_add_co_ci_u32_e32 v1, vcc_lo, v33, v1, vcc_lo
	v_add_co_u32 v5, vcc_lo, v32, v5
	v_mov_b32_e32 v22, v19
	v_mad_co_u64_u32 v[18:19], null, s5, v18, v[7:8]
	v_mad_co_u64_u32 v[19:20], null, s4, v17, 0
	s_wait_alu 0xfffd
	v_add_co_ci_u32_e32 v6, vcc_lo, v33, v6, vcc_lo
	global_store_b32 v[0:1], v4, off
	s_wait_dscnt 0x0
	global_store_b32 v[5:6], v2, off
	ds_load_2addr_b32 v[4:5], v31 offset0:102 offset1:119
	v_mov_b32_e32 v2, v20
	v_mad_co_u64_u32 v[6:7], null, s4, v16, 0
	v_mov_b32_e32 v24, v18
	v_lshlrev_b64_e32 v[0:1], 2, v[21:22]
	s_delay_alu instid0(VALU_DEP_4) | instskip(NEXT) | instid1(VALU_DEP_3)
	v_mad_co_u64_u32 v[17:18], null, s5, v17, v[2:3]
	v_lshlrev_b64_e32 v[20:21], 2, v[23:24]
	v_mov_b32_e32 v2, v7
	s_delay_alu instid0(VALU_DEP_4) | instskip(SKIP_2) | instid1(VALU_DEP_4)
	v_add_co_u32 v0, vcc_lo, v32, v0
	s_wait_alu 0xfffd
	v_add_co_ci_u32_e32 v1, vcc_lo, v33, v1, vcc_lo
	v_add_co_u32 v22, vcc_lo, v32, v20
	v_mov_b32_e32 v20, v17
	v_mad_co_u64_u32 v[16:17], null, s5, v16, v[2:3]
	v_mad_co_u64_u32 v[17:18], null, s4, v15, 0
	s_wait_alu 0xfffd
	v_add_co_ci_u32_e32 v23, vcc_lo, v33, v21, vcc_lo
	global_store_b32 v[0:1], v3, off
	s_wait_dscnt 0x0
	global_store_b32 v[22:23], v4, off
	ds_load_2addr_b32 v[2:3], v31 offset0:136 offset1:153
	v_dual_mov_b32 v7, v16 :: v_dual_mov_b32 v4, v18
	v_lshlrev_b64_e32 v[0:1], 2, v[19:20]
	v_mad_co_u64_u32 v[19:20], null, s4, v14, 0
	s_delay_alu instid0(VALU_DEP_3) | instskip(NEXT) | instid1(VALU_DEP_4)
	v_lshlrev_b64_e32 v[6:7], 2, v[6:7]
	v_mad_co_u64_u32 v[15:16], null, s5, v15, v[4:5]
	s_delay_alu instid0(VALU_DEP_4)
	v_add_co_u32 v0, vcc_lo, v32, v0
	s_wait_alu 0xfffd
	v_add_co_ci_u32_e32 v1, vcc_lo, v33, v1, vcc_lo
	v_mad_co_u64_u32 v[21:22], null, s4, v13, 0
	v_add_co_u32 v6, vcc_lo, v32, v6
	s_wait_alu 0xfffd
	v_add_co_ci_u32_e32 v7, vcc_lo, v33, v7, vcc_lo
	v_mov_b32_e32 v18, v15
	v_mov_b32_e32 v4, v20
	global_store_b32 v[0:1], v5, off
	s_wait_dscnt 0x0
	global_store_b32 v[6:7], v2, off
	v_mov_b32_e32 v0, v22
	v_lshlrev_b64_e32 v[1:2], 2, v[17:18]
	v_mad_co_u64_u32 v[14:15], null, s5, v14, v[4:5]
	s_delay_alu instid0(VALU_DEP_2) | instskip(SKIP_1) | instid1(VALU_DEP_3)
	v_mad_co_u64_u32 v[4:5], null, s5, v13, v[0:1]
	v_add_co_u32 v0, vcc_lo, v32, v1
	v_mov_b32_e32 v20, v14
	ds_load_2addr_b32 v[13:14], v31 offset0:170 offset1:187
	v_mad_co_u64_u32 v[5:6], null, s4, v12, 0
	s_wait_alu 0xfffd
	v_add_co_ci_u32_e32 v1, vcc_lo, v33, v2, vcc_lo
	v_mov_b32_e32 v22, v4
	v_lshlrev_b64_e32 v[15:16], 2, v[19:20]
	global_store_b32 v[0:1], v3, off
	v_mov_b32_e32 v2, v6
	v_lshlrev_b64_e32 v[0:1], 2, v[21:22]
	v_add_co_u32 v3, vcc_lo, v32, v15
	s_wait_alu 0xfffd
	v_add_co_ci_u32_e32 v4, vcc_lo, v33, v16, vcc_lo
	s_delay_alu instid0(VALU_DEP_3) | instskip(NEXT) | instid1(VALU_DEP_3)
	v_add_co_u32 v0, vcc_lo, v32, v0
	v_mad_co_u64_u32 v[6:7], null, s5, v12, v[2:3]
	s_wait_alu 0xfffd
	v_add_co_ci_u32_e32 v1, vcc_lo, v33, v1, vcc_lo
	v_mad_co_u64_u32 v[15:16], null, s4, v11, 0
	s_wait_dscnt 0x0
	s_clause 0x1
	global_store_b32 v[3:4], v13, off
	global_store_b32 v[0:1], v14, off
	ds_load_2addr_b32 v[0:1], v31 offset0:204 offset1:221
	v_lshlrev_b64_e32 v[2:3], 2, v[5:6]
	v_mad_co_u64_u32 v[5:6], null, s4, v9, 0
	v_mad_co_u64_u32 v[12:13], null, s4, v10, 0
	v_mov_b32_e32 v4, v16
	s_delay_alu instid0(VALU_DEP_4) | instskip(SKIP_2) | instid1(VALU_DEP_3)
	v_add_co_u32 v2, vcc_lo, v32, v2
	s_wait_alu 0xfffd
	v_add_co_ci_u32_e32 v3, vcc_lo, v33, v3, vcc_lo
	v_mad_co_u64_u32 v[16:17], null, s5, v11, v[4:5]
	v_mad_co_u64_u32 v[17:18], null, s4, v8, 0
	v_mov_b32_e32 v4, v6
	v_mov_b32_e32 v6, v13
	s_delay_alu instid0(VALU_DEP_2)
	v_mad_co_u64_u32 v[13:14], null, s5, v9, v[4:5]
	s_wait_dscnt 0x0
	global_store_b32 v[2:3], v0, off
	v_mov_b32_e32 v0, v18
	v_mad_co_u64_u32 v[9:10], null, s5, v10, v[6:7]
	v_lshlrev_b64_e32 v[2:3], 2, v[15:16]
	s_delay_alu instid0(VALU_DEP_3)
	v_mad_co_u64_u32 v[7:8], null, s5, v8, v[0:1]
	v_mov_b32_e32 v6, v13
	ds_load_b32 v0, v31 offset:1088
	v_mov_b32_e32 v13, v9
	ds_load_2addr_b32 v[8:9], v31 offset0:238 offset1:255
	v_add_co_u32 v2, vcc_lo, v32, v2
	v_lshlrev_b64_e32 v[4:5], 2, v[5:6]
	v_mov_b32_e32 v18, v7
	v_lshlrev_b64_e32 v[10:11], 2, v[12:13]
	s_wait_alu 0xfffd
	v_add_co_ci_u32_e32 v3, vcc_lo, v33, v3, vcc_lo
	s_delay_alu instid0(VALU_DEP_4)
	v_add_co_u32 v4, vcc_lo, v32, v4
	v_lshlrev_b64_e32 v[6:7], 2, v[17:18]
	s_wait_alu 0xfffd
	v_add_co_ci_u32_e32 v5, vcc_lo, v33, v5, vcc_lo
	v_add_co_u32 v10, vcc_lo, v32, v10
	s_wait_alu 0xfffd
	v_add_co_ci_u32_e32 v11, vcc_lo, v33, v11, vcc_lo
	v_add_co_u32 v6, vcc_lo, v32, v6
	s_wait_alu 0xfffd
	v_add_co_ci_u32_e32 v7, vcc_lo, v33, v7, vcc_lo
	global_store_b32 v[2:3], v1, off
	s_wait_dscnt 0x0
	s_clause 0x2
	global_store_b32 v[4:5], v8, off
	global_store_b32 v[10:11], v9, off
	;; [unrolled: 1-line block ×3, first 2 shown]
.LBB0_16:
	s_nop 0
	s_sendmsg sendmsg(MSG_DEALLOC_VGPRS)
	s_endpgm
	.section	.rodata,"a",@progbits
	.p2align	6, 0x0
	.amdhsa_kernel fft_rtc_fwd_len289_factors_17_17_wgs_119_tpt_17_half_ip_CI_sbcc_twdbase8_2step
		.amdhsa_group_segment_fixed_size 0
		.amdhsa_private_segment_fixed_size 0
		.amdhsa_kernarg_size 96
		.amdhsa_user_sgpr_count 2
		.amdhsa_user_sgpr_dispatch_ptr 0
		.amdhsa_user_sgpr_queue_ptr 0
		.amdhsa_user_sgpr_kernarg_segment_ptr 1
		.amdhsa_user_sgpr_dispatch_id 0
		.amdhsa_user_sgpr_private_segment_size 0
		.amdhsa_wavefront_size32 1
		.amdhsa_uses_dynamic_stack 0
		.amdhsa_enable_private_segment 0
		.amdhsa_system_sgpr_workgroup_id_x 1
		.amdhsa_system_sgpr_workgroup_id_y 0
		.amdhsa_system_sgpr_workgroup_id_z 0
		.amdhsa_system_sgpr_workgroup_info 0
		.amdhsa_system_vgpr_workitem_id 0
		.amdhsa_next_free_vgpr 103
		.amdhsa_next_free_sgpr 51
		.amdhsa_reserve_vcc 1
		.amdhsa_float_round_mode_32 0
		.amdhsa_float_round_mode_16_64 0
		.amdhsa_float_denorm_mode_32 3
		.amdhsa_float_denorm_mode_16_64 3
		.amdhsa_fp16_overflow 0
		.amdhsa_workgroup_processor_mode 1
		.amdhsa_memory_ordered 1
		.amdhsa_forward_progress 0
		.amdhsa_round_robin_scheduling 0
		.amdhsa_exception_fp_ieee_invalid_op 0
		.amdhsa_exception_fp_denorm_src 0
		.amdhsa_exception_fp_ieee_div_zero 0
		.amdhsa_exception_fp_ieee_overflow 0
		.amdhsa_exception_fp_ieee_underflow 0
		.amdhsa_exception_fp_ieee_inexact 0
		.amdhsa_exception_int_div_zero 0
	.end_amdhsa_kernel
	.text
.Lfunc_end0:
	.size	fft_rtc_fwd_len289_factors_17_17_wgs_119_tpt_17_half_ip_CI_sbcc_twdbase8_2step, .Lfunc_end0-fft_rtc_fwd_len289_factors_17_17_wgs_119_tpt_17_half_ip_CI_sbcc_twdbase8_2step
                                        ; -- End function
	.section	.AMDGPU.csdata,"",@progbits
; Kernel info:
; codeLenInByte = 17616
; NumSgprs: 53
; NumVgprs: 103
; ScratchSize: 0
; MemoryBound: 0
; FloatMode: 240
; IeeeMode: 1
; LDSByteSize: 0 bytes/workgroup (compile time only)
; SGPRBlocks: 6
; VGPRBlocks: 12
; NumSGPRsForWavesPerEU: 53
; NumVGPRsForWavesPerEU: 103
; Occupancy: 12
; WaveLimiterHint : 1
; COMPUTE_PGM_RSRC2:SCRATCH_EN: 0
; COMPUTE_PGM_RSRC2:USER_SGPR: 2
; COMPUTE_PGM_RSRC2:TRAP_HANDLER: 0
; COMPUTE_PGM_RSRC2:TGID_X_EN: 1
; COMPUTE_PGM_RSRC2:TGID_Y_EN: 0
; COMPUTE_PGM_RSRC2:TGID_Z_EN: 0
; COMPUTE_PGM_RSRC2:TIDIG_COMP_CNT: 0
	.text
	.p2alignl 7, 3214868480
	.fill 96, 4, 3214868480
	.type	__hip_cuid_ab575d9c6eccfe68,@object ; @__hip_cuid_ab575d9c6eccfe68
	.section	.bss,"aw",@nobits
	.globl	__hip_cuid_ab575d9c6eccfe68
__hip_cuid_ab575d9c6eccfe68:
	.byte	0                               ; 0x0
	.size	__hip_cuid_ab575d9c6eccfe68, 1

	.ident	"AMD clang version 19.0.0git (https://github.com/RadeonOpenCompute/llvm-project roc-6.4.0 25133 c7fe45cf4b819c5991fe208aaa96edf142730f1d)"
	.section	".note.GNU-stack","",@progbits
	.addrsig
	.addrsig_sym __hip_cuid_ab575d9c6eccfe68
	.amdgpu_metadata
---
amdhsa.kernels:
  - .args:
      - .actual_access:  read_only
        .address_space:  global
        .offset:         0
        .size:           8
        .value_kind:     global_buffer
      - .address_space:  global
        .offset:         8
        .size:           8
        .value_kind:     global_buffer
      - .offset:         16
        .size:           8
        .value_kind:     by_value
      - .actual_access:  read_only
        .address_space:  global
        .offset:         24
        .size:           8
        .value_kind:     global_buffer
      - .actual_access:  read_only
        .address_space:  global
        .offset:         32
        .size:           8
        .value_kind:     global_buffer
      - .offset:         40
        .size:           8
        .value_kind:     by_value
      - .actual_access:  read_only
        .address_space:  global
        .offset:         48
        .size:           8
        .value_kind:     global_buffer
      - .actual_access:  read_only
        .address_space:  global
        .offset:         56
        .size:           8
        .value_kind:     global_buffer
      - .offset:         64
        .size:           4
        .value_kind:     by_value
      - .actual_access:  read_only
        .address_space:  global
        .offset:         72
        .size:           8
        .value_kind:     global_buffer
      - .actual_access:  read_only
        .address_space:  global
        .offset:         80
        .size:           8
        .value_kind:     global_buffer
      - .address_space:  global
        .offset:         88
        .size:           8
        .value_kind:     global_buffer
    .group_segment_fixed_size: 0
    .kernarg_segment_align: 8
    .kernarg_segment_size: 96
    .language:       OpenCL C
    .language_version:
      - 2
      - 0
    .max_flat_workgroup_size: 119
    .name:           fft_rtc_fwd_len289_factors_17_17_wgs_119_tpt_17_half_ip_CI_sbcc_twdbase8_2step
    .private_segment_fixed_size: 0
    .sgpr_count:     53
    .sgpr_spill_count: 0
    .symbol:         fft_rtc_fwd_len289_factors_17_17_wgs_119_tpt_17_half_ip_CI_sbcc_twdbase8_2step.kd
    .uniform_work_group_size: 1
    .uses_dynamic_stack: false
    .vgpr_count:     103
    .vgpr_spill_count: 0
    .wavefront_size: 32
    .workgroup_processor_mode: 1
amdhsa.target:   amdgcn-amd-amdhsa--gfx1201
amdhsa.version:
  - 1
  - 2
...

	.end_amdgpu_metadata
